;; amdgpu-corpus repo=pytorch/pytorch kind=compiled arch=gfx950 opt=O3
	.amdgcn_target "amdgcn-amd-amdhsa--gfx950"
	.amdhsa_code_object_version 6
	.section	.text._ZN2at6native12_GLOBAL__N_129ctc_loss_log_alpha_gpu_kernelIdlEEvPT_PKS3_PKllPKT0_S8_lS4_llllllS8_lll,"axG",@progbits,_ZN2at6native12_GLOBAL__N_129ctc_loss_log_alpha_gpu_kernelIdlEEvPT_PKS3_PKllPKT0_S8_lS4_llllllS8_lll,comdat
	.globl	_ZN2at6native12_GLOBAL__N_129ctc_loss_log_alpha_gpu_kernelIdlEEvPT_PKS3_PKllPKT0_S8_lS4_llllllS8_lll ; -- Begin function _ZN2at6native12_GLOBAL__N_129ctc_loss_log_alpha_gpu_kernelIdlEEvPT_PKS3_PKllPKT0_S8_lS4_llllllS8_lll
	.p2align	8
	.type	_ZN2at6native12_GLOBAL__N_129ctc_loss_log_alpha_gpu_kernelIdlEEvPT_PKS3_PKllPKT0_S8_lS4_llllllS8_lll,@function
_ZN2at6native12_GLOBAL__N_129ctc_loss_log_alpha_gpu_kernelIdlEEvPT_PKS3_PKllPKT0_S8_lS4_llllllS8_lll: ; @_ZN2at6native12_GLOBAL__N_129ctc_loss_log_alpha_gpu_kernelIdlEEvPT_PKS3_PKllPKT0_S8_lS4_llllllS8_lll
; %bb.0:
	s_load_dword s2, s[0:1], 0x9c
	s_load_dwordx4 s[16:19], s[0:1], 0x78
	s_add_u32 s6, s0, 0x90
	s_addc_u32 s7, s1, 0
	v_bfe_u32 v1, v0, 10, 10
	s_waitcnt lgkmcnt(0)
	s_lshr_b32 s2, s2, 16
	s_mul_i32 s3, s3, s2
	v_add_u32_e32 v2, s3, v1
	v_mov_b32_e32 v3, 0
	v_cmp_gt_i64_e32 vcc, s[18:19], v[2:3]
	s_and_saveexec_b64 s[2:3], vcc
	s_cbranch_execz .LBB0_53
; %bb.1:
	s_load_dwordx2 s[2:3], s[0:1], 0x10
	s_load_dwordx2 s[4:5], s[0:1], 0x28
	;; [unrolled: 1-line block ×3, first 2 shown]
	v_lshlrev_b64 v[4:5], 3, v[2:3]
	s_waitcnt lgkmcnt(0)
	v_lshl_add_u64 v[6:7], s[2:3], 0, v[4:5]
	global_load_dwordx2 v[6:7], v[6:7], off
	v_lshl_add_u64 v[4:5], s[4:5], 0, v[4:5]
	global_load_dwordx2 v[4:5], v[4:5], off
	s_waitcnt vmcnt(1)
	v_cmp_ne_u64_e32 vcc, 0, v[6:7]
	s_and_saveexec_b64 s[2:3], vcc
	s_xor_b64 s[28:29], exec, s[2:3]
	s_cbranch_execz .LBB0_50
; %bb.2:
	s_load_dwordx2 s[2:3], s[0:1], 0x70
	s_load_dwordx4 s[20:23], s[0:1], 0x60
	v_and_b32_e32 v0, 0x3ff, v0
	s_waitcnt lgkmcnt(0)
	v_lshl_add_u64 v[8:9], v[2:3], 3, s[2:3]
	global_load_dwordx2 v[12:13], v[8:9], off
	s_load_dwordx8 s[8:15], s[0:1], 0x40
	s_load_dwordx4 s[24:27], s[0:1], 0x0
	s_load_dwordx2 s[2:3], s[0:1], 0x20
	s_load_dwordx2 s[30:31], s[0:1], 0x88
	;; [unrolled: 1-line block ×3, first 2 shown]
	s_waitcnt lgkmcnt(0)
	v_mad_u64_u32 v[24:25], s[34:35], s10, v2, 0
	v_mad_u64_u32 v[8:9], s[34:35], s14, v2, 0
	v_mov_b32_e32 v10, v25
	v_mov_b32_e32 v14, v9
	v_mad_u64_u32 v[10:11], s[10:11], s11, v2, v[10:11]
	v_mad_u64_u32 v[14:15], s[10:11], s15, v2, v[14:15]
	s_lshl_b64 s[34:35], s[4:5], 1
	v_cmp_gt_i64_e64 s[4:5], s[4:5], -1
	v_mov_b32_e32 v9, v14
	s_and_b64 vcc, exec, s[4:5]
	v_mov_b32_e32 v25, v10
	v_lshlrev_b64 v[10:11], 3, v[8:9]
	s_waitcnt vmcnt(0)
	v_lshl_add_u64 v[12:13], v[12:13], 3, s[2:3]
	s_cbranch_vccz .LBB0_17
; %bb.3:
	s_mul_i32 s14, s30, s13
	s_mul_hi_u32 s15, s30, s12
	s_load_dword s33, s[6:7], 0xc
	s_add_i32 s14, s15, s14
	s_mul_i32 s15, s31, s12
	v_lshl_add_u64 v[14:15], v[24:25], 3, s[26:27]
	s_add_i32 s15, s14, s15
	s_mul_i32 s14, s30, s12
	v_lshl_add_u64 v[16:17], s[14:15], 3, v[14:15]
	v_mad_u64_u32 v[18:19], s[14:15], s22, v0, 0
	v_mov_b32_e32 v20, v19
	s_waitcnt lgkmcnt(0)
	s_and_b32 s33, s33, 0xffff
	v_mad_u64_u32 v[20:21], s[14:15], s23, v0, v[20:21]
	v_mov_b32_e32 v19, v20
	s_mul_i32 s14, s23, s33
	s_mul_hi_u32 s15, s22, s33
	v_lshl_add_u64 v[18:19], v[18:19], 3, v[10:11]
	s_add_i32 s15, s15, s14
	s_mul_i32 s14, s22, s33
	v_mov_b32_e32 v1, 0
	s_mov_b64 s[10:11], 0
	v_cmp_ne_u64_e64 s[2:3], 0, v[4:5]
	v_lshl_add_u64 v[18:19], s[24:25], 0, v[18:19]
	s_lshl_b64 s[14:15], s[14:15], 3
	v_mov_b64_e32 v[20:21], s[34:35]
	s_branch .LBB0_5
.LBB0_4:                                ;   in Loop: Header=BB0_5 Depth=1
	s_or_b64 exec, exec, s[36:37]
	s_add_u32 s10, s10, s33
	s_addc_u32 s11, s11, 0
	v_cmp_gt_i64_e32 vcc, s[10:11], v[20:21]
	v_lshl_add_u64 v[18:19], v[18:19], 0, s[14:15]
	s_cbranch_vccnz .LBB0_17
.LBB0_5:                                ; =>This Inner Loop Header: Depth=1
	v_lshl_add_u64 v[22:23], v[0:1], 0, s[10:11]
	v_cmp_lt_i64_e32 vcc, 0, v[22:23]
                                        ; implicit-def: $vgpr26_vgpr27
	s_and_saveexec_b64 s[36:37], vcc
	s_xor_b64 s[36:37], exec, s[36:37]
	s_cbranch_execnz .LBB0_8
; %bb.6:                                ;   in Loop: Header=BB0_5 Depth=1
	s_andn2_saveexec_b64 s[36:37], s[36:37]
	s_cbranch_execnz .LBB0_13
.LBB0_7:                                ;   in Loop: Header=BB0_5 Depth=1
	s_or_b64 exec, exec, s[36:37]
	v_cmp_ge_i64_e32 vcc, s[34:35], v[22:23]
	s_and_saveexec_b64 s[36:37], vcc
	s_cbranch_execz .LBB0_4
	s_branch .LBB0_16
.LBB0_8:                                ;   in Loop: Header=BB0_5 Depth=1
	s_waitcnt vmcnt(0)
	v_mov_b32_e32 v26, 0
	v_cmp_eq_u64_e32 vcc, 1, v[22:23]
	v_mov_b32_e32 v27, 0xfff00000
	s_and_saveexec_b64 s[38:39], vcc
	s_cbranch_execz .LBB0_12
; %bb.9:                                ;   in Loop: Header=BB0_5 Depth=1
	v_mov_b32_e32 v26, 0
	v_mov_b32_e32 v27, 0xfff00000
	s_and_saveexec_b64 s[40:41], s[2:3]
	s_cbranch_execz .LBB0_11
; %bb.10:                               ;   in Loop: Header=BB0_5 Depth=1
	global_load_dwordx2 v[26:27], v[12:13], off
	s_waitcnt vmcnt(0)
	v_mul_lo_u32 v28, v27, s12
	v_mul_lo_u32 v29, v26, s13
	v_mad_u64_u32 v[26:27], s[42:43], v26, s12, 0
	v_add3_u32 v27, v27, v29, v28
	v_lshl_add_u64 v[26:27], v[26:27], 3, v[14:15]
	global_load_dwordx2 v[26:27], v[26:27], off
.LBB0_11:                               ;   in Loop: Header=BB0_5 Depth=1
	s_or_b64 exec, exec, s[40:41]
.LBB0_12:                               ;   in Loop: Header=BB0_5 Depth=1
	s_or_b64 exec, exec, s[38:39]
	s_andn2_saveexec_b64 s[36:37], s[36:37]
	s_cbranch_execz .LBB0_7
.LBB0_13:                               ;   in Loop: Header=BB0_5 Depth=1
	s_waitcnt vmcnt(0)
	v_mov_b32_e32 v26, 0
	v_cmp_eq_u64_e32 vcc, 0, v[22:23]
	v_mov_b32_e32 v27, 0xfff00000
	s_and_saveexec_b64 s[38:39], vcc
	s_cbranch_execz .LBB0_15
; %bb.14:                               ;   in Loop: Header=BB0_5 Depth=1
	global_load_dwordx2 v[26:27], v[16:17], off
.LBB0_15:                               ;   in Loop: Header=BB0_5 Depth=1
	s_or_b64 exec, exec, s[38:39]
	s_or_b64 exec, exec, s[36:37]
	v_cmp_ge_i64_e32 vcc, s[34:35], v[22:23]
	s_and_saveexec_b64 s[36:37], vcc
	s_cbranch_execz .LBB0_4
.LBB0_16:                               ;   in Loop: Header=BB0_5 Depth=1
	s_waitcnt vmcnt(0)
	global_store_dwordx2 v[18:19], v[26:27], off
	s_branch .LBB0_4
.LBB0_17:
	s_andn2_b64 vcc, exec, s[4:5]
	v_cmp_lt_i64_e64 s[4:5], 0, v[4:5]
	s_cbranch_vccnz .LBB0_45
; %bb.18:
	s_load_dword s2, s[6:7], 0xc
	s_load_dwordx2 s[10:11], s[0:1], 0x18
	v_mad_u64_u32 v[16:17], s[0:1], s22, v0, 0
	v_mov_b32_e32 v15, 0
	v_mov_b32_e32 v14, v17
	s_waitcnt lgkmcnt(0)
	s_and_b32 s33, s2, 0xffff
	v_mad_u64_u32 v[18:19], s[0:1], s23, v0, v[14:15]
	s_lshl_b64 s[36:37], s[20:21], 3
	v_mov_b32_e32 v17, v18
	s_add_u32 s0, s24, s36
	v_lshlrev_b64 v[18:19], 3, v[16:17]
	s_addc_u32 s1, s25, s37
	v_mov_b32_e32 v1, v15
	v_lshl_add_u64 v[16:17], s[0:1], 0, v[18:19]
	s_mul_i32 s0, s23, s33
	s_mul_hi_u32 s1, s22, s33
	s_add_i32 s1, s1, s0
	s_mul_i32 s0, s22, s33
	v_lshl_add_u64 v[20:21], v[0:1], 0, -2
	s_lshl_b64 s[38:39], s[0:1], 3
	v_mul_lo_u32 v14, s23, v20
	v_mul_lo_u32 v22, s22, v21
	v_mad_u64_u32 v[20:21], s[0:1], s22, v20, 0
	v_add3_u32 v21, v21, v22, v14
	v_lshl_add_u64 v[22:23], v[0:1], 0, -1
	v_mul_lo_u32 v14, s23, v22
	s_waitcnt vmcnt(0)
	v_mul_lo_u32 v26, s22, v23
	v_mad_u64_u32 v[22:23], s[0:1], s22, v22, 0
	s_lshl_b64 s[8:9], s[8:9], 3
	s_add_u32 s0, s26, s8
	v_add3_u32 v23, v23, v26, v14
	s_addc_u32 s1, s27, s9
	s_mov_b32 s40, 0
	s_mov_b32 s42, 0x652b82fe
	;; [unrolled: 1-line block ×18, first 2 shown]
	s_mov_b64 s[14:15], 0
	v_lshl_add_u64 v[18:19], s[24:25], 0, v[18:19]
	v_lshl_add_u64 v[20:21], v[20:21], 3, s[24:25]
	;; [unrolled: 1-line block ×4, first 2 shown]
	s_lshl_b64 s[12:13], s[12:13], 3
	v_cmp_gt_i64_e64 s[26:27], s[10:11], 1
	s_mov_b32 s41, 0xfff00000
	s_mov_b32 s43, 0x3ff71547
	;; [unrolled: 1-line block ×20, first 2 shown]
	s_movk_i32 s92, 0x204
	v_mov_b32_e32 v56, 0x7ff00000
	v_mov_b32_e32 v26, 0x6b47b09a
	;; [unrolled: 1-line block ×13, first 2 shown]
	s_branch .LBB0_20
.LBB0_19:                               ;   in Loop: Header=BB0_20 Depth=1
	s_add_u32 s14, s14, s33
	s_addc_u32 s15, s15, 0
	v_mov_b64_e32 v[38:39], s[34:35]
	v_cmp_gt_i64_e32 vcc, s[14:15], v[38:39]
	v_lshl_add_u64 v[16:17], v[16:17], 0, s[38:39]
	v_lshl_add_u64 v[18:19], v[18:19], 0, s[38:39]
	;; [unrolled: 1-line block ×4, first 2 shown]
	s_cbranch_vccnz .LBB0_45
.LBB0_20:                               ; =>This Loop Header: Depth=1
                                        ;     Child Loop BB0_31 Depth 2
	v_lshl_add_u64 v[38:39], s[14:15], 0, v[0:1]
	s_waitcnt vmcnt(0)
	v_lshlrev_b64 v[40:41], 1, v[4:5]
	v_cmp_le_i64_e64 s[0:1], v[38:39], v[40:41]
	s_and_b64 s[2:3], s[4:5], s[0:1]
	v_mov_b64_e32 v[40:41], s[30:31]
	s_mov_b64 s[80:81], 0
	s_and_saveexec_b64 s[6:7], s[2:3]
	s_cbranch_execz .LBB0_28
; %bb.21:                               ;   in Loop: Header=BB0_20 Depth=1
	v_and_b32_e32 v14, 1, v38
	v_cmp_eq_u32_e32 vcc, 1, v14
	v_mov_b64_e32 v[40:41], s[30:31]
	s_and_saveexec_b64 s[2:3], vcc
	s_cbranch_execz .LBB0_23
; %bb.22:                               ;   in Loop: Header=BB0_20 Depth=1
	v_alignbit_b32 v14, v39, v38, 1
	v_mul_lo_u32 v42, v14, s17
	v_mad_u64_u32 v[40:41], s[80:81], v14, s16, 0
	v_lshrrev_b32_e32 v14, 1, v39
	v_mul_lo_u32 v14, v14, s16
	v_add3_u32 v41, v41, v42, v14
	v_lshl_add_u64 v[40:41], v[40:41], 3, v[12:13]
	global_load_dwordx2 v[40:41], v[40:41], off
.LBB0_23:                               ;   in Loop: Header=BB0_20 Depth=1
	s_or_b64 exec, exec, s[2:3]
	v_cmp_lt_u64_e64 s[2:3], 1, v[38:39]
	s_mov_b64 s[82:83], 0
	s_and_saveexec_b64 s[80:81], s[2:3]
	s_cbranch_execz .LBB0_27
; %bb.24:                               ;   in Loop: Header=BB0_20 Depth=1
	v_mov_b64_e32 v[42:43], s[30:31]
	s_and_saveexec_b64 s[2:3], vcc
	s_cbranch_execz .LBB0_26
; %bb.25:                               ;   in Loop: Header=BB0_20 Depth=1
	v_lshl_add_u64 v[42:43], v[38:39], 0, -2
	v_lshrrev_b32_e32 v14, 31, v43
	v_lshl_add_u64 v[42:43], v[42:43], 0, v[14:15]
	v_ashrrev_i64 v[42:43], 1, v[42:43]
	v_mul_lo_u32 v14, v43, s16
	v_mul_lo_u32 v44, v42, s17
	v_mad_u64_u32 v[42:43], s[82:83], v42, s16, 0
	v_add3_u32 v43, v43, v44, v14
	v_lshl_add_u64 v[42:43], v[42:43], 3, v[12:13]
	global_load_dwordx2 v[42:43], v[42:43], off
.LBB0_26:                               ;   in Loop: Header=BB0_20 Depth=1
	s_or_b64 exec, exec, s[2:3]
	s_waitcnt vmcnt(0)
	v_cmp_ne_u64_e32 vcc, v[42:43], v[40:41]
	s_and_b64 s[82:83], vcc, exec
.LBB0_27:                               ;   in Loop: Header=BB0_20 Depth=1
	s_or_b64 exec, exec, s[80:81]
	s_and_b64 s[80:81], s[82:83], exec
.LBB0_28:                               ;   in Loop: Header=BB0_20 Depth=1
	s_or_b64 exec, exec, s[6:7]
	s_andn2_b64 vcc, exec, s[26:27]
	s_cbranch_vccnz .LBB0_19
; %bb.29:                               ;   in Loop: Header=BB0_20 Depth=1
	v_cmp_ge_i64_e32 vcc, s[34:35], v[38:39]
	v_cmp_ne_u64_e64 s[2:3], 0, v[38:39]
	s_waitcnt vmcnt(0)
	v_mad_u64_u32 v[38:39], s[6:7], s12, v40, v[24:25]
	v_mul_lo_u32 v14, s12, v41
	v_mul_lo_u32 v40, s13, v40
	v_add3_u32 v39, v40, v39, v14
	s_mov_b64 s[82:83], 1
	s_xor_b64 s[84:85], s[0:1], -1
	v_mov_b64_e32 v[40:41], v[22:23]
	v_mov_b64_e32 v[42:43], v[20:21]
	;; [unrolled: 1-line block ×4, first 2 shown]
	s_branch .LBB0_31
.LBB0_30:                               ;   in Loop: Header=BB0_31 Depth=2
	s_or_b64 exec, exec, s[0:1]
	s_add_u32 s82, s82, 1
	s_addc_u32 s83, s83, 0
	v_lshl_add_u64 v[46:47], v[46:47], 0, s[36:37]
	v_lshl_add_u64 v[44:45], v[44:45], 0, s[36:37]
	;; [unrolled: 1-line block ×4, first 2 shown]
	s_cmp_eq_u64 s[10:11], s[82:83]
	v_lshl_add_u64 v[38:39], v[38:39], 0, s[8:9]
	s_cbranch_scc1 .LBB0_19
.LBB0_31:                               ;   Parent Loop BB0_20 Depth=1
                                        ; =>  This Inner Loop Header: Depth=2
	v_cmp_ge_i64_e64 s[0:1], s[82:83], v[6:7]
	s_or_b64 s[0:1], s[84:85], s[0:1]
	s_mov_b64 s[86:87], 0
	s_barrier
	s_and_saveexec_b64 s[6:7], s[0:1]
	s_xor_b64 s[0:1], exec, s[6:7]
; %bb.32:                               ;   in Loop: Header=BB0_31 Depth=2
	s_and_b64 s[86:87], vcc, exec
; %bb.33:                               ;   in Loop: Header=BB0_31 Depth=2
	s_or_saveexec_b64 s[88:89], s[0:1]
	v_mov_b32_e32 v48, 0
	v_mov_b32_e32 v49, 0xfff00000
	s_xor_b64 exec, exec, s[88:89]
	s_cbranch_execz .LBB0_43
; %bb.34:                               ;   in Loop: Header=BB0_31 Depth=2
	v_lshl_add_u64 v[48:49], v[44:45], 0, v[10:11]
	global_load_dwordx2 v[54:55], v[48:49], off
	v_mov_b32_e32 v50, 0
	v_mov_b32_e32 v52, 0
	v_mov_b32_e32 v51, 0xfff00000
	v_mov_b32_e32 v53, 0xfff00000
	s_waitcnt vmcnt(0)
	v_mov_b64_e32 v[48:49], v[54:55]
	s_and_saveexec_b64 s[6:7], s[2:3]
	s_cbranch_execz .LBB0_38
; %bb.35:                               ;   in Loop: Header=BB0_31 Depth=2
	v_lshl_add_u64 v[48:49], v[40:41], 0, v[10:11]
	global_load_dwordx2 v[52:53], v[48:49], off
	v_mov_b64_e32 v[48:49], v[54:55]
	s_waitcnt vmcnt(0)
	v_cmp_gt_f64_e64 s[0:1], v[52:53], v[54:55]
	s_and_saveexec_b64 s[90:91], s[0:1]
; %bb.36:                               ;   in Loop: Header=BB0_31 Depth=2
	v_mov_b64_e32 v[48:49], v[52:53]
; %bb.37:                               ;   in Loop: Header=BB0_31 Depth=2
	s_or_b64 exec, exec, s[90:91]
.LBB0_38:                               ;   in Loop: Header=BB0_31 Depth=2
	s_or_b64 exec, exec, s[6:7]
	s_and_saveexec_b64 s[6:7], s[80:81]
	s_cbranch_execz .LBB0_42
; %bb.39:                               ;   in Loop: Header=BB0_31 Depth=2
	v_lshl_add_u64 v[50:51], v[42:43], 0, v[10:11]
	global_load_dwordx2 v[50:51], v[50:51], off
	s_waitcnt vmcnt(0)
	v_cmp_gt_f64_e64 s[0:1], v[50:51], v[48:49]
	s_and_saveexec_b64 s[90:91], s[0:1]
; %bb.40:                               ;   in Loop: Header=BB0_31 Depth=2
	v_mov_b64_e32 v[48:49], v[50:51]
; %bb.41:                               ;   in Loop: Header=BB0_31 Depth=2
	s_or_b64 exec, exec, s[90:91]
.LBB0_42:                               ;   in Loop: Header=BB0_31 Depth=2
	s_or_b64 exec, exec, s[6:7]
	v_cmp_neq_f64_e64 s[0:1], s[40:41], v[48:49]
	v_mov_b64_e32 v[62:63], s[48:49]
	s_mov_b32 s76, s44
	v_cndmask_b32_e64 v49, 0, v49, s[0:1]
	v_cndmask_b32_e64 v48, 0, v48, s[0:1]
	v_add_f64 v[54:55], v[54:55], -v[48:49]
	v_mul_f64 v[58:59], v[54:55], s[42:43]
	v_rndne_f64_e32 v[58:59], v[58:59]
	v_fma_f64 v[60:61], s[44:45], v[58:59], v[54:55]
	v_fmac_f64_e32 v[60:61], s[46:47], v[58:59]
	v_fma_f64 v[64:65], s[50:51], v[60:61], v[62:63]
	v_fma_f64 v[64:65], v[60:61], v[64:65], s[52:53]
	;; [unrolled: 1-line block ×9, first 2 shown]
	v_fma_f64 v[64:65], v[60:61], v[64:65], 1.0
	v_fma_f64 v[60:61], v[60:61], v[64:65], 1.0
	v_cvt_i32_f64_e32 v14, v[58:59]
	v_ldexp_f64 v[58:59], v[60:61], v14
	v_cmp_nlt_f64_e64 s[0:1], s[68:69], v[54:55]
	v_cmp_ngt_f64_e64 s[6:7], s[70:71], v[54:55]
	v_add_f64 v[52:53], v[52:53], -v[48:49]
	v_cndmask_b32_e64 v14, v56, v59, s[0:1]
	s_and_b64 s[0:1], s[6:7], s[0:1]
	v_cndmask_b32_e64 v54, 0, v58, s[0:1]
	v_mul_f64 v[58:59], v[52:53], s[42:43]
	v_rndne_f64_e32 v[58:59], v[58:59]
	v_fma_f64 v[60:61], s[44:45], v[58:59], v[52:53]
	v_fmac_f64_e32 v[60:61], s[46:47], v[58:59]
	v_fma_f64 v[64:65], s[50:51], v[60:61], v[62:63]
	v_fma_f64 v[64:65], v[60:61], v[64:65], s[52:53]
	;; [unrolled: 1-line block ×9, first 2 shown]
	v_fma_f64 v[64:65], v[60:61], v[64:65], 1.0
	v_cndmask_b32_e64 v55, 0, v14, s[6:7]
	v_fma_f64 v[60:61], v[60:61], v[64:65], 1.0
	v_cvt_i32_f64_e32 v14, v[58:59]
	v_ldexp_f64 v[58:59], v[60:61], v14
	v_cmp_nlt_f64_e64 s[0:1], s[68:69], v[52:53]
	v_cmp_ngt_f64_e64 s[6:7], s[70:71], v[52:53]
	v_add_f64 v[50:51], v[50:51], -v[48:49]
	v_cndmask_b32_e64 v14, v56, v59, s[0:1]
	s_and_b64 s[0:1], s[6:7], s[0:1]
	v_cndmask_b32_e64 v53, 0, v14, s[6:7]
	v_cndmask_b32_e64 v52, 0, v58, s[0:1]
	v_add_f64 v[52:53], v[54:55], v[52:53]
	v_mul_f64 v[54:55], v[50:51], s[42:43]
	v_rndne_f64_e32 v[54:55], v[54:55]
	v_fma_f64 v[58:59], s[44:45], v[54:55], v[50:51]
	v_fmac_f64_e32 v[58:59], s[46:47], v[54:55]
	v_fmac_f64_e32 v[62:63], s[50:51], v[58:59]
	v_fma_f64 v[60:61], v[58:59], v[62:63], s[52:53]
	v_fma_f64 v[60:61], v[58:59], v[60:61], s[54:55]
	;; [unrolled: 1-line block ×8, first 2 shown]
	v_fma_f64 v[60:61], v[58:59], v[60:61], 1.0
	v_fma_f64 v[58:59], v[58:59], v[60:61], 1.0
	v_cvt_i32_f64_e32 v14, v[54:55]
	v_ldexp_f64 v[54:55], v[58:59], v14
	v_cmp_nlt_f64_e64 s[0:1], s[68:69], v[50:51]
	v_cmp_ngt_f64_e64 s[6:7], s[70:71], v[50:51]
	s_mov_b32 s78, s46
	v_cndmask_b32_e64 v14, v56, v55, s[0:1]
	s_and_b64 s[0:1], s[6:7], s[0:1]
	v_cndmask_b32_e64 v51, 0, v14, s[6:7]
	v_cndmask_b32_e64 v50, 0, v54, s[0:1]
	v_add_f64 v[50:51], v[50:51], v[52:53]
	v_frexp_mant_f64_e32 v[52:53], v[50:51]
	v_cmp_gt_f64_e64 s[0:1], s[72:73], v[52:53]
	v_frexp_exp_i32_f64_e32 v14, v[50:51]
	s_or_b64 s[86:87], s[86:87], exec
	v_cndmask_b32_e64 v54, 0, 1, s[0:1]
	v_ldexp_f64 v[52:53], v[52:53], v54
	v_add_f64 v[54:55], v[52:53], 1.0
	v_rcp_f64_e32 v[58:59], v[54:55]
	v_add_f64 v[62:63], v[54:55], -1.0
	v_add_f64 v[60:61], v[52:53], -1.0
	v_add_f64 v[52:53], v[52:53], -v[62:63]
	v_fma_f64 v[62:63], -v[54:55], v[58:59], 1.0
	v_fmac_f64_e32 v[58:59], v[62:63], v[58:59]
	global_load_dwordx2 v[62:63], v[38:39], off
	v_fma_f64 v[64:65], -v[54:55], v[58:59], 1.0
	v_fmac_f64_e32 v[58:59], v[64:65], v[58:59]
	v_mul_f64 v[64:65], v[60:61], v[58:59]
	v_mul_f64 v[66:67], v[54:55], v[64:65]
	v_fma_f64 v[54:55], v[64:65], v[54:55], -v[66:67]
	v_fmac_f64_e32 v[54:55], v[64:65], v[52:53]
	v_add_f64 v[52:53], v[66:67], v[54:55]
	v_add_f64 v[68:69], v[60:61], -v[52:53]
	v_add_f64 v[66:67], v[52:53], -v[66:67]
	;; [unrolled: 1-line block ×5, first 2 shown]
	v_add_f64 v[52:53], v[54:55], v[52:53]
	v_add_f64 v[52:53], v[68:69], v[52:53]
	v_mul_f64 v[52:53], v[58:59], v[52:53]
	v_add_f64 v[54:55], v[64:65], v[52:53]
	v_add_f64 v[58:59], v[54:55], -v[64:65]
	v_add_f64 v[52:53], v[52:53], -v[58:59]
	v_mul_f64 v[58:59], v[54:55], v[54:55]
	v_mov_b64_e32 v[60:61], v[26:27]
	v_fmac_f64_e32 v[60:61], s[74:75], v[58:59]
	v_mov_b64_e32 v[64:65], v[28:29]
	v_fmac_f64_e32 v[64:65], v[58:59], v[60:61]
	;; [unrolled: 2-line block ×6, first 2 shown]
	v_ldexp_f64 v[60:61], v[54:55], 1
	v_mul_f64 v[54:55], v[54:55], v[58:59]
	v_mul_f64 v[54:55], v[54:55], v[64:65]
	v_add_f64 v[58:59], v[60:61], v[54:55]
	v_add_f64 v[60:61], v[58:59], -v[60:61]
	v_ldexp_f64 v[52:53], v[52:53], 1
	v_add_f64 v[54:55], v[54:55], -v[60:61]
	v_add_f64 v[52:53], v[52:53], v[54:55]
	v_add_f64 v[54:55], v[58:59], v[52:53]
	v_subbrev_co_u32_e64 v14, s[0:1], 0, v14, s[0:1]
	v_add_f64 v[58:59], v[54:55], -v[58:59]
	v_add_f64 v[52:53], v[52:53], -v[58:59]
	v_cvt_f64_i32_e32 v[58:59], v14
	v_mul_f64 v[60:61], v[58:59], s[76:77]
	v_fma_f64 v[64:65], v[58:59], s[76:77], -v[60:61]
	v_fmac_f64_e32 v[64:65], s[78:79], v[58:59]
	v_add_f64 v[58:59], v[60:61], v[64:65]
	v_add_f64 v[60:61], v[58:59], -v[60:61]
	v_add_f64 v[60:61], v[64:65], -v[60:61]
	v_add_f64 v[64:65], v[58:59], v[54:55]
	v_add_f64 v[66:67], v[64:65], -v[58:59]
	v_add_f64 v[68:69], v[64:65], -v[66:67]
	;; [unrolled: 1-line block ×4, first 2 shown]
	v_add_f64 v[54:55], v[54:55], v[58:59]
	v_add_f64 v[58:59], v[60:61], v[52:53]
	v_add_f64 v[66:67], v[58:59], -v[60:61]
	v_add_f64 v[68:69], v[58:59], -v[66:67]
	v_add_f64 v[54:55], v[58:59], v[54:55]
	v_add_f64 v[60:61], v[60:61], -v[68:69]
	v_add_f64 v[52:53], v[52:53], -v[66:67]
	v_add_f64 v[58:59], v[64:65], v[54:55]
	v_add_f64 v[52:53], v[52:53], v[60:61]
	v_add_f64 v[60:61], v[58:59], -v[64:65]
	v_add_f64 v[54:55], v[54:55], -v[60:61]
	v_add_f64 v[52:53], v[52:53], v[54:55]
	v_add_f64 v[52:53], v[58:59], v[52:53]
	v_cmp_class_f64_e64 s[0:1], v[50:51], s92
	s_nop 1
	v_cndmask_b32_e64 v14, v52, v50, s[0:1]
	v_cndmask_b32_e64 v52, v53, v51, s[0:1]
	v_mov_b32_e32 v53, 0x7ff80000
	v_cmp_ngt_f64_e64 s[0:1], 0, v[50:51]
	s_nop 1
	v_cndmask_b32_e64 v53, v53, v52, s[0:1]
	v_cmp_nge_f64_e64 s[0:1], 0, v[50:51]
	s_nop 1
	v_cndmask_b32_e64 v52, 0, v14, s[0:1]
	v_mov_b32_e32 v14, 0xfff00000
	v_cmp_neq_f64_e64 s[0:1], 0, v[50:51]
	s_nop 1
	v_cndmask_b32_e64 v53, v14, v53, s[0:1]
	v_add_f64 v[48:49], v[48:49], v[52:53]
	s_waitcnt vmcnt(0)
	v_add_f64 v[48:49], v[62:63], v[48:49]
.LBB0_43:                               ;   in Loop: Header=BB0_31 Depth=2
	s_or_b64 exec, exec, s[88:89]
	s_and_saveexec_b64 s[0:1], s[86:87]
	s_cbranch_execz .LBB0_30
; %bb.44:                               ;   in Loop: Header=BB0_31 Depth=2
	v_lshl_add_u64 v[50:51], v[46:47], 0, v[10:11]
	global_store_dwordx2 v[50:51], v[48:49], off
	s_branch .LBB0_30
.LBB0_45:
	v_cmp_eq_u32_e32 vcc, 0, v0
	s_barrier
	s_and_saveexec_b64 s[2:3], vcc
	s_cbranch_execz .LBB0_49
; %bb.46:
	v_lshl_add_u64 v[0:1], v[6:7], 0, -1
	v_mul_lo_u32 v6, v1, s20
	v_mul_lo_u32 v7, v0, s21
	v_mad_u64_u32 v[0:1], s[0:1], v0, s20, 0
	v_add3_u32 v1, v1, v7, v6
	v_mul_lo_u32 v6, v5, s22
	v_mul_lo_u32 v7, v4, s23
	v_mad_u64_u32 v[10:11], s[0:1], v4, s22, 0
	v_add3_u32 v11, v11, v7, v6
	v_lshl_add_u64 v[6:7], v[8:9], 3, s[24:25]
	v_lshl_add_u64 v[0:1], v[0:1], 3, v[6:7]
	;; [unrolled: 1-line block ×3, first 2 shown]
	global_load_dwordx2 v[6:7], v[6:7], off
	v_cmp_lt_i64_e32 vcc, 0, v[4:5]
	v_mov_b32_e32 v4, 0
	v_mov_b32_e32 v5, 0xfff00000
	s_and_saveexec_b64 s[0:1], vcc
	s_cbranch_execz .LBB0_48
; %bb.47:
	v_lshlrev_b64 v[4:5], 1, v[10:11]
	v_mov_b32_e32 v8, s23
	v_subrev_co_u32_e32 v4, vcc, s22, v4
	s_nop 1
	v_subb_co_u32_e32 v5, vcc, v5, v8, vcc
	v_lshl_add_u64 v[0:1], v[4:5], 3, v[0:1]
	global_load_dwordx2 v[4:5], v[0:1], off
.LBB0_48:
	s_or_b64 exec, exec, s[0:1]
	s_waitcnt vmcnt(0)
	v_cmp_gt_f64_e32 vcc, v[6:7], v[4:5]
	s_mov_b32 s0, 0
	s_mov_b32 s1, 0xfff00000
	v_cndmask_b32_e32 v1, v5, v7, vcc
	v_cndmask_b32_e32 v0, v4, v6, vcc
	v_cmp_neq_f64_e32 vcc, s[0:1], v[0:1]
	s_mov_b32 s8, 0x652b82fe
	s_mov_b32 s9, 0x3ff71547
	v_cndmask_b32_e32 v1, 0, v1, vcc
	v_cndmask_b32_e32 v0, 0, v0, vcc
	v_add_f64 v[6:7], v[6:7], -v[0:1]
	v_mul_f64 v[8:9], v[6:7], s[8:9]
	v_rndne_f64_e32 v[8:9], v[8:9]
	s_mov_b32 s5, 0xbfe62e42
	s_mov_b32 s4, 0xfefa39ef
	;; [unrolled: 1-line block ×3, first 2 shown]
	v_fma_f64 v[10:11], s[4:5], v[8:9], v[6:7]
	s_mov_b32 s7, 0xbc7abc9e
	s_mov_b32 s6, 0x3b39803f
	;; [unrolled: 1-line block ×4, first 2 shown]
	v_fmac_f64_e32 v[10:11], s[6:7], v[8:9]
	s_mov_b32 s11, 0x3e5ade15
	v_mov_b64_e32 v[12:13], s[0:1]
	s_mov_b32 s12, 0x623fde64
	v_fma_f64 v[14:15], s[10:11], v[10:11], v[12:13]
	s_mov_b32 s13, 0x3ec71dee
	s_mov_b32 s14, 0x7c89e6b0
	v_fma_f64 v[14:15], v[10:11], v[14:15], s[12:13]
	s_mov_b32 s15, 0x3efa0199
	;; [unrolled: 3-line block ×8, first 2 shown]
	v_fma_f64 v[14:15], v[10:11], v[14:15], s[30:31]
	v_fma_f64 v[14:15], v[10:11], v[14:15], 1.0
	s_mov_b32 s34, 0
	s_mov_b32 s36, 0
	v_fma_f64 v[10:11], v[10:11], v[14:15], 1.0
	v_cvt_i32_f64_e32 v8, v[8:9]
	s_mov_b32 s35, 0x40900000
	s_mov_b32 s37, 0xc090cc00
	v_ldexp_f64 v[8:9], v[10:11], v8
	v_mov_b32_e32 v14, 0x7ff00000
	v_cmp_nlt_f64_e32 vcc, s[34:35], v[6:7]
	v_cmp_ngt_f64_e64 s[0:1], s[36:37], v[6:7]
	v_add_f64 v[4:5], v[4:5], -v[0:1]
	v_cndmask_b32_e32 v9, v14, v9, vcc
	s_and_b64 vcc, s[0:1], vcc
	v_cndmask_b32_e64 v7, 0, v9, s[0:1]
	v_cndmask_b32_e32 v6, 0, v8, vcc
	v_mul_f64 v[8:9], v[4:5], s[8:9]
	v_rndne_f64_e32 v[8:9], v[8:9]
	v_fma_f64 v[10:11], s[4:5], v[8:9], v[4:5]
	v_fmac_f64_e32 v[10:11], s[6:7], v[8:9]
	v_fmac_f64_e32 v[12:13], s[10:11], v[10:11]
	v_fma_f64 v[12:13], v[10:11], v[12:13], s[12:13]
	v_fma_f64 v[12:13], v[10:11], v[12:13], s[14:15]
	;; [unrolled: 1-line block ×8, first 2 shown]
	v_fma_f64 v[12:13], v[10:11], v[12:13], 1.0
	v_fma_f64 v[10:11], v[10:11], v[12:13], 1.0
	v_cvt_i32_f64_e32 v8, v[8:9]
	v_ldexp_f64 v[8:9], v[10:11], v8
	v_cmp_nlt_f64_e32 vcc, s[34:35], v[4:5]
	v_cmp_ngt_f64_e64 s[0:1], s[36:37], v[4:5]
	s_mov_b32 s5, 0x3fe62e42
	v_cndmask_b32_e32 v9, v14, v9, vcc
	s_and_b64 vcc, s[0:1], vcc
	v_cndmask_b32_e64 v5, 0, v9, s[0:1]
	v_cndmask_b32_e32 v4, 0, v8, vcc
	v_add_f64 v[4:5], v[6:7], v[4:5]
	s_mov_b32 s0, 0x55555555
	v_frexp_mant_f64_e32 v[6:7], v[4:5]
	s_mov_b32 s1, 0x3fe55555
	v_cmp_gt_f64_e32 vcc, s[0:1], v[6:7]
	v_frexp_exp_i32_f64_e32 v8, v[4:5]
	s_mov_b32 s0, 0xbf559e2b
	v_cndmask_b32_e64 v9, 0, 1, vcc
	v_ldexp_f64 v[6:7], v[6:7], v9
	v_subbrev_co_u32_e32 v20, vcc, 0, v8, vcc
	v_add_f64 v[8:9], v[6:7], 1.0
	v_rcp_f64_e32 v[10:11], v[8:9]
	v_add_f64 v[14:15], v[8:9], -1.0
	v_add_f64 v[12:13], v[6:7], -1.0
	v_add_f64 v[6:7], v[6:7], -v[14:15]
	v_fma_f64 v[14:15], -v[8:9], v[10:11], 1.0
	v_fmac_f64_e32 v[10:11], v[14:15], v[10:11]
	v_fma_f64 v[14:15], -v[8:9], v[10:11], 1.0
	v_fmac_f64_e32 v[10:11], v[14:15], v[10:11]
	v_mul_f64 v[14:15], v[12:13], v[10:11]
	v_mul_f64 v[16:17], v[8:9], v[14:15]
	v_fma_f64 v[8:9], v[14:15], v[8:9], -v[16:17]
	v_fmac_f64_e32 v[8:9], v[14:15], v[6:7]
	v_add_f64 v[6:7], v[16:17], v[8:9]
	v_add_f64 v[18:19], v[12:13], -v[6:7]
	v_add_f64 v[16:17], v[6:7], -v[16:17]
	;; [unrolled: 1-line block ×5, first 2 shown]
	v_add_f64 v[6:7], v[8:9], v[6:7]
	v_add_f64 v[6:7], v[18:19], v[6:7]
	v_mul_f64 v[6:7], v[10:11], v[6:7]
	v_add_f64 v[8:9], v[14:15], v[6:7]
	v_add_f64 v[10:11], v[8:9], -v[14:15]
	v_add_f64 v[6:7], v[6:7], -v[10:11]
	v_mul_f64 v[10:11], v[8:9], v[8:9]
	v_mov_b32_e32 v12, 0x6b47b09a
	v_mov_b32_e32 v13, 0x3fc38538
	s_mov_b32 s1, 0x3fc3ab76
	v_fmac_f64_e32 v[12:13], s[0:1], v[10:11]
	v_mov_b32_e32 v14, 0xd7f4df2e
	v_mov_b32_e32 v15, 0x3fc7474d
	v_fmac_f64_e32 v[14:15], v[10:11], v[12:13]
	v_mov_b32_e32 v12, 0x16291751
	v_mov_b32_e32 v13, 0x3fcc71c0
	;; [unrolled: 3-line block ×5, first 2 shown]
	v_fmac_f64_e32 v[14:15], v[10:11], v[12:13]
	v_ldexp_f64 v[12:13], v[8:9], 1
	v_mul_f64 v[8:9], v[8:9], v[10:11]
	v_mul_f64 v[8:9], v[8:9], v[14:15]
	v_add_f64 v[10:11], v[12:13], v[8:9]
	v_add_f64 v[12:13], v[10:11], -v[12:13]
	v_ldexp_f64 v[6:7], v[6:7], 1
	v_add_f64 v[8:9], v[8:9], -v[12:13]
	v_add_f64 v[6:7], v[6:7], v[8:9]
	v_add_f64 v[8:9], v[10:11], v[6:7]
	v_add_f64 v[10:11], v[8:9], -v[10:11]
	v_add_f64 v[6:7], v[6:7], -v[10:11]
	v_cvt_f64_i32_e32 v[10:11], v20
	v_mul_f64 v[12:13], v[10:11], s[4:5]
	v_fma_f64 v[14:15], v[10:11], s[4:5], -v[12:13]
	s_mov_b32 s7, 0x3c7abc9e
	v_fmac_f64_e32 v[14:15], s[6:7], v[10:11]
	v_add_f64 v[10:11], v[12:13], v[14:15]
	v_add_f64 v[12:13], v[10:11], -v[12:13]
	v_add_f64 v[12:13], v[14:15], -v[12:13]
	v_add_f64 v[14:15], v[10:11], v[8:9]
	v_add_f64 v[16:17], v[14:15], -v[10:11]
	v_add_f64 v[18:19], v[14:15], -v[16:17]
	v_add_f64 v[10:11], v[10:11], -v[18:19]
	v_add_f64 v[8:9], v[8:9], -v[16:17]
	v_add_f64 v[8:9], v[8:9], v[10:11]
	v_add_f64 v[10:11], v[12:13], v[6:7]
	v_add_f64 v[16:17], v[10:11], -v[12:13]
	v_add_f64 v[18:19], v[10:11], -v[16:17]
	v_add_f64 v[8:9], v[10:11], v[8:9]
	v_add_f64 v[12:13], v[12:13], -v[18:19]
	v_add_f64 v[6:7], v[6:7], -v[16:17]
	v_add_f64 v[10:11], v[14:15], v[8:9]
	v_add_f64 v[6:7], v[6:7], v[12:13]
	v_add_f64 v[12:13], v[10:11], -v[14:15]
	v_add_f64 v[8:9], v[8:9], -v[12:13]
	v_add_f64 v[6:7], v[6:7], v[8:9]
	s_movk_i32 s0, 0x204
	v_add_f64 v[6:7], v[10:11], v[6:7]
	v_cmp_class_f64_e64 vcc, v[4:5], s0
	v_mov_b32_e32 v8, 0x7ff80000
	v_lshl_add_u64 v[2:3], v[2:3], 3, s[18:19]
	v_cndmask_b32_e32 v6, v6, v4, vcc
	v_cndmask_b32_e32 v7, v7, v5, vcc
	v_cmp_ngt_f64_e32 vcc, 0, v[4:5]
	s_nop 1
	v_cndmask_b32_e32 v7, v8, v7, vcc
	v_cmp_nge_f64_e32 vcc, 0, v[4:5]
	v_mov_b32_e32 v8, 0xfff00000
	s_nop 0
	v_cndmask_b32_e32 v6, 0, v6, vcc
	v_cmp_neq_f64_e32 vcc, 0, v[4:5]
	s_nop 1
	v_cndmask_b32_e32 v7, v8, v7, vcc
	v_add_f64 v[0:1], v[0:1], v[6:7]
	v_xor_b32_e32 v1, 0x80000000, v1
	global_store_dwordx2 v[2:3], v[0:1], off
.LBB0_49:
	s_or_b64 exec, exec, s[2:3]
                                        ; implicit-def: $vgpr0
                                        ; implicit-def: $vgpr2_vgpr3
                                        ; implicit-def: $vgpr4_vgpr5
.LBB0_50:
	s_andn2_saveexec_b64 s[0:1], s[28:29]
	s_cbranch_execz .LBB0_53
; %bb.51:
	v_and_b32_e32 v0, 0x3ff, v0
	v_cmp_eq_u32_e32 vcc, 0, v0
	s_and_b64 exec, exec, vcc
	s_cbranch_execz .LBB0_53
; %bb.52:
	v_lshl_add_u64 v[0:1], v[2:3], 3, s[18:19]
	v_mov_b32_e32 v2, 0x7ff00000
	v_bfrev_b32_e32 v3, 1
	s_waitcnt vmcnt(0)
	v_cmp_eq_u64_e32 vcc, 0, v[4:5]
	s_nop 1
	v_cndmask_b32_e32 v3, v2, v3, vcc
	v_mov_b32_e32 v2, 0
	global_store_dwordx2 v[0:1], v[2:3], off
.LBB0_53:
	s_endpgm
	.section	.rodata,"a",@progbits
	.p2align	6, 0x0
	.amdhsa_kernel _ZN2at6native12_GLOBAL__N_129ctc_loss_log_alpha_gpu_kernelIdlEEvPT_PKS3_PKllPKT0_S8_lS4_llllllS8_lll
		.amdhsa_group_segment_fixed_size 0
		.amdhsa_private_segment_fixed_size 0
		.amdhsa_kernarg_size 400
		.amdhsa_user_sgpr_count 2
		.amdhsa_user_sgpr_dispatch_ptr 0
		.amdhsa_user_sgpr_queue_ptr 0
		.amdhsa_user_sgpr_kernarg_segment_ptr 1
		.amdhsa_user_sgpr_dispatch_id 0
		.amdhsa_user_sgpr_kernarg_preload_length 0
		.amdhsa_user_sgpr_kernarg_preload_offset 0
		.amdhsa_user_sgpr_private_segment_size 0
		.amdhsa_uses_dynamic_stack 0
		.amdhsa_enable_private_segment 0
		.amdhsa_system_sgpr_workgroup_id_x 1
		.amdhsa_system_sgpr_workgroup_id_y 1
		.amdhsa_system_sgpr_workgroup_id_z 0
		.amdhsa_system_sgpr_workgroup_info 0
		.amdhsa_system_vgpr_workitem_id 1
		.amdhsa_next_free_vgpr 70
		.amdhsa_next_free_sgpr 93
		.amdhsa_accum_offset 72
		.amdhsa_reserve_vcc 1
		.amdhsa_float_round_mode_32 0
		.amdhsa_float_round_mode_16_64 0
		.amdhsa_float_denorm_mode_32 3
		.amdhsa_float_denorm_mode_16_64 3
		.amdhsa_dx10_clamp 1
		.amdhsa_ieee_mode 1
		.amdhsa_fp16_overflow 0
		.amdhsa_tg_split 0
		.amdhsa_exception_fp_ieee_invalid_op 0
		.amdhsa_exception_fp_denorm_src 0
		.amdhsa_exception_fp_ieee_div_zero 0
		.amdhsa_exception_fp_ieee_overflow 0
		.amdhsa_exception_fp_ieee_underflow 0
		.amdhsa_exception_fp_ieee_inexact 0
		.amdhsa_exception_int_div_zero 0
	.end_amdhsa_kernel
	.section	.text._ZN2at6native12_GLOBAL__N_129ctc_loss_log_alpha_gpu_kernelIdlEEvPT_PKS3_PKllPKT0_S8_lS4_llllllS8_lll,"axG",@progbits,_ZN2at6native12_GLOBAL__N_129ctc_loss_log_alpha_gpu_kernelIdlEEvPT_PKS3_PKllPKT0_S8_lS4_llllllS8_lll,comdat
.Lfunc_end0:
	.size	_ZN2at6native12_GLOBAL__N_129ctc_loss_log_alpha_gpu_kernelIdlEEvPT_PKS3_PKllPKT0_S8_lS4_llllllS8_lll, .Lfunc_end0-_ZN2at6native12_GLOBAL__N_129ctc_loss_log_alpha_gpu_kernelIdlEEvPT_PKS3_PKllPKT0_S8_lS4_llllllS8_lll
                                        ; -- End function
	.set _ZN2at6native12_GLOBAL__N_129ctc_loss_log_alpha_gpu_kernelIdlEEvPT_PKS3_PKllPKT0_S8_lS4_llllllS8_lll.num_vgpr, 70
	.set _ZN2at6native12_GLOBAL__N_129ctc_loss_log_alpha_gpu_kernelIdlEEvPT_PKS3_PKllPKT0_S8_lS4_llllllS8_lll.num_agpr, 0
	.set _ZN2at6native12_GLOBAL__N_129ctc_loss_log_alpha_gpu_kernelIdlEEvPT_PKS3_PKllPKT0_S8_lS4_llllllS8_lll.numbered_sgpr, 93
	.set _ZN2at6native12_GLOBAL__N_129ctc_loss_log_alpha_gpu_kernelIdlEEvPT_PKS3_PKllPKT0_S8_lS4_llllllS8_lll.num_named_barrier, 0
	.set _ZN2at6native12_GLOBAL__N_129ctc_loss_log_alpha_gpu_kernelIdlEEvPT_PKS3_PKllPKT0_S8_lS4_llllllS8_lll.private_seg_size, 0
	.set _ZN2at6native12_GLOBAL__N_129ctc_loss_log_alpha_gpu_kernelIdlEEvPT_PKS3_PKllPKT0_S8_lS4_llllllS8_lll.uses_vcc, 1
	.set _ZN2at6native12_GLOBAL__N_129ctc_loss_log_alpha_gpu_kernelIdlEEvPT_PKS3_PKllPKT0_S8_lS4_llllllS8_lll.uses_flat_scratch, 0
	.set _ZN2at6native12_GLOBAL__N_129ctc_loss_log_alpha_gpu_kernelIdlEEvPT_PKS3_PKllPKT0_S8_lS4_llllllS8_lll.has_dyn_sized_stack, 0
	.set _ZN2at6native12_GLOBAL__N_129ctc_loss_log_alpha_gpu_kernelIdlEEvPT_PKS3_PKllPKT0_S8_lS4_llllllS8_lll.has_recursion, 0
	.set _ZN2at6native12_GLOBAL__N_129ctc_loss_log_alpha_gpu_kernelIdlEEvPT_PKS3_PKllPKT0_S8_lS4_llllllS8_lll.has_indirect_call, 0
	.section	.AMDGPU.csdata,"",@progbits
; Kernel info:
; codeLenInByte = 5060
; TotalNumSgprs: 99
; NumVgprs: 70
; NumAgprs: 0
; TotalNumVgprs: 70
; ScratchSize: 0
; MemoryBound: 0
; FloatMode: 240
; IeeeMode: 1
; LDSByteSize: 0 bytes/workgroup (compile time only)
; SGPRBlocks: 12
; VGPRBlocks: 8
; NumSGPRsForWavesPerEU: 99
; NumVGPRsForWavesPerEU: 70
; AccumOffset: 72
; Occupancy: 7
; WaveLimiterHint : 1
; COMPUTE_PGM_RSRC2:SCRATCH_EN: 0
; COMPUTE_PGM_RSRC2:USER_SGPR: 2
; COMPUTE_PGM_RSRC2:TRAP_HANDLER: 0
; COMPUTE_PGM_RSRC2:TGID_X_EN: 1
; COMPUTE_PGM_RSRC2:TGID_Y_EN: 1
; COMPUTE_PGM_RSRC2:TGID_Z_EN: 0
; COMPUTE_PGM_RSRC2:TIDIG_COMP_CNT: 1
; COMPUTE_PGM_RSRC3_GFX90A:ACCUM_OFFSET: 17
; COMPUTE_PGM_RSRC3_GFX90A:TG_SPLIT: 0
	.section	.text._ZN2at6native12_GLOBAL__N_129ctc_loss_log_alpha_gpu_kernelIdiEEvPT_PKS3_PKllPKT0_S8_lS4_llllllS8_lll,"axG",@progbits,_ZN2at6native12_GLOBAL__N_129ctc_loss_log_alpha_gpu_kernelIdiEEvPT_PKS3_PKllPKT0_S8_lS4_llllllS8_lll,comdat
	.globl	_ZN2at6native12_GLOBAL__N_129ctc_loss_log_alpha_gpu_kernelIdiEEvPT_PKS3_PKllPKT0_S8_lS4_llllllS8_lll ; -- Begin function _ZN2at6native12_GLOBAL__N_129ctc_loss_log_alpha_gpu_kernelIdiEEvPT_PKS3_PKllPKT0_S8_lS4_llllllS8_lll
	.p2align	8
	.type	_ZN2at6native12_GLOBAL__N_129ctc_loss_log_alpha_gpu_kernelIdiEEvPT_PKS3_PKllPKT0_S8_lS4_llllllS8_lll,@function
_ZN2at6native12_GLOBAL__N_129ctc_loss_log_alpha_gpu_kernelIdiEEvPT_PKS3_PKllPKT0_S8_lS4_llllllS8_lll: ; @_ZN2at6native12_GLOBAL__N_129ctc_loss_log_alpha_gpu_kernelIdiEEvPT_PKS3_PKllPKT0_S8_lS4_llllllS8_lll
; %bb.0:
	s_load_dword s2, s[0:1], 0x9c
	s_load_dwordx4 s[16:19], s[0:1], 0x78
	s_add_u32 s6, s0, 0x90
	s_addc_u32 s7, s1, 0
	v_bfe_u32 v1, v0, 10, 10
	s_waitcnt lgkmcnt(0)
	s_lshr_b32 s2, s2, 16
	s_mul_i32 s3, s3, s2
	v_add_u32_e32 v2, s3, v1
	v_mov_b32_e32 v3, 0
	v_cmp_gt_i64_e32 vcc, s[18:19], v[2:3]
	s_and_saveexec_b64 s[2:3], vcc
	s_cbranch_execz .LBB1_53
; %bb.1:
	s_load_dwordx2 s[2:3], s[0:1], 0x10
	s_load_dwordx2 s[4:5], s[0:1], 0x28
	s_load_dwordx2 s[18:19], s[0:1], 0x38
	v_lshlrev_b64 v[4:5], 3, v[2:3]
	s_waitcnt lgkmcnt(0)
	v_lshl_add_u64 v[6:7], s[2:3], 0, v[4:5]
	global_load_dwordx2 v[6:7], v[6:7], off
	v_lshl_add_u64 v[4:5], s[4:5], 0, v[4:5]
	global_load_dwordx2 v[4:5], v[4:5], off
	s_waitcnt vmcnt(1)
	v_cmp_ne_u64_e32 vcc, 0, v[6:7]
	s_and_saveexec_b64 s[2:3], vcc
	s_xor_b64 s[28:29], exec, s[2:3]
	s_cbranch_execz .LBB1_50
; %bb.2:
	s_load_dwordx2 s[2:3], s[0:1], 0x70
	s_load_dwordx4 s[20:23], s[0:1], 0x60
	v_and_b32_e32 v0, 0x3ff, v0
	s_waitcnt lgkmcnt(0)
	v_lshl_add_u64 v[8:9], v[2:3], 3, s[2:3]
	global_load_dwordx2 v[12:13], v[8:9], off
	s_load_dwordx8 s[8:15], s[0:1], 0x40
	s_load_dwordx4 s[24:27], s[0:1], 0x0
	s_load_dwordx2 s[2:3], s[0:1], 0x20
	s_load_dwordx2 s[30:31], s[0:1], 0x88
	;; [unrolled: 1-line block ×3, first 2 shown]
	s_waitcnt lgkmcnt(0)
	v_mad_u64_u32 v[24:25], s[34:35], s10, v2, 0
	v_mad_u64_u32 v[8:9], s[34:35], s14, v2, 0
	v_mov_b32_e32 v10, v25
	v_mov_b32_e32 v14, v9
	v_mad_u64_u32 v[10:11], s[10:11], s11, v2, v[10:11]
	v_mad_u64_u32 v[14:15], s[10:11], s15, v2, v[14:15]
	s_lshl_b64 s[34:35], s[4:5], 1
	v_cmp_gt_i64_e64 s[4:5], s[4:5], -1
	v_mov_b32_e32 v9, v14
	s_and_b64 vcc, exec, s[4:5]
	v_mov_b32_e32 v25, v10
	v_lshlrev_b64 v[10:11], 3, v[8:9]
	s_waitcnt vmcnt(0)
	v_lshl_add_u64 v[12:13], v[12:13], 2, s[2:3]
	s_cbranch_vccz .LBB1_17
; %bb.3:
	s_mul_i32 s14, s30, s13
	s_mul_hi_u32 s15, s30, s12
	s_load_dword s33, s[6:7], 0xc
	s_add_i32 s14, s15, s14
	s_mul_i32 s15, s31, s12
	v_lshl_add_u64 v[14:15], v[24:25], 3, s[26:27]
	s_add_i32 s15, s14, s15
	s_mul_i32 s14, s30, s12
	v_lshl_add_u64 v[16:17], s[14:15], 3, v[14:15]
	v_mad_u64_u32 v[18:19], s[14:15], s22, v0, 0
	v_mov_b32_e32 v20, v19
	s_waitcnt lgkmcnt(0)
	s_and_b32 s33, s33, 0xffff
	v_mad_u64_u32 v[20:21], s[14:15], s23, v0, v[20:21]
	v_mov_b32_e32 v19, v20
	s_mul_i32 s14, s23, s33
	s_mul_hi_u32 s15, s22, s33
	v_lshl_add_u64 v[18:19], v[18:19], 3, v[10:11]
	s_add_i32 s15, s15, s14
	s_mul_i32 s14, s22, s33
	v_mov_b32_e32 v1, 0
	s_mov_b64 s[10:11], 0
	v_cmp_ne_u64_e64 s[2:3], 0, v[4:5]
	v_lshl_add_u64 v[18:19], s[24:25], 0, v[18:19]
	s_lshl_b64 s[14:15], s[14:15], 3
	v_mov_b64_e32 v[20:21], s[34:35]
	s_branch .LBB1_5
.LBB1_4:                                ;   in Loop: Header=BB1_5 Depth=1
	s_or_b64 exec, exec, s[36:37]
	s_add_u32 s10, s10, s33
	s_addc_u32 s11, s11, 0
	v_cmp_gt_i64_e32 vcc, s[10:11], v[20:21]
	v_lshl_add_u64 v[18:19], v[18:19], 0, s[14:15]
	s_cbranch_vccnz .LBB1_17
.LBB1_5:                                ; =>This Inner Loop Header: Depth=1
	v_lshl_add_u64 v[22:23], v[0:1], 0, s[10:11]
	v_cmp_lt_i64_e32 vcc, 0, v[22:23]
                                        ; implicit-def: $vgpr26_vgpr27
	s_and_saveexec_b64 s[36:37], vcc
	s_xor_b64 s[36:37], exec, s[36:37]
	s_cbranch_execnz .LBB1_8
; %bb.6:                                ;   in Loop: Header=BB1_5 Depth=1
	s_andn2_saveexec_b64 s[36:37], s[36:37]
	s_cbranch_execnz .LBB1_13
.LBB1_7:                                ;   in Loop: Header=BB1_5 Depth=1
	s_or_b64 exec, exec, s[36:37]
	v_cmp_ge_i64_e32 vcc, s[34:35], v[22:23]
	s_and_saveexec_b64 s[36:37], vcc
	s_cbranch_execz .LBB1_4
	s_branch .LBB1_16
.LBB1_8:                                ;   in Loop: Header=BB1_5 Depth=1
	s_waitcnt vmcnt(0)
	v_mov_b32_e32 v26, 0
	v_cmp_eq_u64_e32 vcc, 1, v[22:23]
	v_mov_b32_e32 v27, 0xfff00000
	s_and_saveexec_b64 s[38:39], vcc
	s_cbranch_execz .LBB1_12
; %bb.9:                                ;   in Loop: Header=BB1_5 Depth=1
	v_mov_b32_e32 v26, 0
	v_mov_b32_e32 v27, 0xfff00000
	s_and_saveexec_b64 s[40:41], s[2:3]
	s_cbranch_execz .LBB1_11
; %bb.10:                               ;   in Loop: Header=BB1_5 Depth=1
	global_load_dword v26, v[12:13], off
	s_waitcnt vmcnt(0)
	v_ashrrev_i32_e32 v27, 31, v26
	v_mul_lo_u32 v28, s13, v26
	v_mul_lo_u32 v29, s12, v27
	v_mad_u64_u32 v[26:27], s[42:43], s12, v26, 0
	v_add3_u32 v27, v27, v29, v28
	v_lshl_add_u64 v[26:27], v[26:27], 3, v[14:15]
	global_load_dwordx2 v[26:27], v[26:27], off
.LBB1_11:                               ;   in Loop: Header=BB1_5 Depth=1
	s_or_b64 exec, exec, s[40:41]
.LBB1_12:                               ;   in Loop: Header=BB1_5 Depth=1
	s_or_b64 exec, exec, s[38:39]
	s_andn2_saveexec_b64 s[36:37], s[36:37]
	s_cbranch_execz .LBB1_7
.LBB1_13:                               ;   in Loop: Header=BB1_5 Depth=1
	s_waitcnt vmcnt(0)
	v_mov_b32_e32 v26, 0
	v_cmp_eq_u64_e32 vcc, 0, v[22:23]
	v_mov_b32_e32 v27, 0xfff00000
	s_and_saveexec_b64 s[38:39], vcc
	s_cbranch_execz .LBB1_15
; %bb.14:                               ;   in Loop: Header=BB1_5 Depth=1
	global_load_dwordx2 v[26:27], v[16:17], off
.LBB1_15:                               ;   in Loop: Header=BB1_5 Depth=1
	s_or_b64 exec, exec, s[38:39]
	s_or_b64 exec, exec, s[36:37]
	v_cmp_ge_i64_e32 vcc, s[34:35], v[22:23]
	s_and_saveexec_b64 s[36:37], vcc
	s_cbranch_execz .LBB1_4
.LBB1_16:                               ;   in Loop: Header=BB1_5 Depth=1
	s_waitcnt vmcnt(0)
	global_store_dwordx2 v[18:19], v[26:27], off
	s_branch .LBB1_4
.LBB1_17:
	s_andn2_b64 vcc, exec, s[4:5]
	v_cmp_lt_i64_e64 s[4:5], 0, v[4:5]
	s_cbranch_vccnz .LBB1_45
; %bb.18:
	s_load_dword s2, s[6:7], 0xc
	s_load_dwordx2 s[10:11], s[0:1], 0x18
	v_mad_u64_u32 v[16:17], s[0:1], s22, v0, 0
	v_mov_b32_e32 v15, 0
	v_mov_b32_e32 v14, v17
	s_waitcnt lgkmcnt(0)
	s_and_b32 s33, s2, 0xffff
	v_mad_u64_u32 v[18:19], s[0:1], s23, v0, v[14:15]
	s_lshl_b64 s[36:37], s[20:21], 3
	v_mov_b32_e32 v17, v18
	s_add_u32 s0, s24, s36
	v_lshlrev_b64 v[18:19], 3, v[16:17]
	s_addc_u32 s1, s25, s37
	v_mov_b32_e32 v1, v15
	v_lshl_add_u64 v[16:17], s[0:1], 0, v[18:19]
	s_mul_i32 s0, s23, s33
	s_mul_hi_u32 s1, s22, s33
	s_add_i32 s1, s1, s0
	s_mul_i32 s0, s22, s33
	v_lshl_add_u64 v[20:21], v[0:1], 0, -2
	s_lshl_b64 s[38:39], s[0:1], 3
	v_mul_lo_u32 v14, s23, v20
	v_mul_lo_u32 v22, s22, v21
	v_mad_u64_u32 v[20:21], s[0:1], s22, v20, 0
	v_add3_u32 v21, v21, v22, v14
	v_lshl_add_u64 v[22:23], v[0:1], 0, -1
	v_mul_lo_u32 v14, s23, v22
	s_waitcnt vmcnt(0)
	v_mul_lo_u32 v26, s22, v23
	v_mad_u64_u32 v[22:23], s[0:1], s22, v22, 0
	s_lshl_b64 s[8:9], s[8:9], 3
	s_add_u32 s0, s26, s8
	v_add3_u32 v23, v23, v26, v14
	s_addc_u32 s1, s27, s9
	s_mov_b32 s40, 0
	s_mov_b32 s42, 0x652b82fe
	;; [unrolled: 1-line block ×18, first 2 shown]
	s_mov_b64 s[14:15], 0
	v_lshl_add_u64 v[18:19], s[24:25], 0, v[18:19]
	v_lshl_add_u64 v[20:21], v[20:21], 3, s[24:25]
	;; [unrolled: 1-line block ×4, first 2 shown]
	s_lshl_b64 s[12:13], s[12:13], 3
	v_cmp_gt_i64_e64 s[26:27], s[10:11], 1
	s_mov_b32 s41, 0xfff00000
	s_mov_b32 s43, 0x3ff71547
	;; [unrolled: 1-line block ×20, first 2 shown]
	s_movk_i32 s92, 0x204
	v_mov_b32_e32 v56, 0x7ff00000
	v_mov_b32_e32 v26, 0x6b47b09a
	;; [unrolled: 1-line block ×13, first 2 shown]
	s_branch .LBB1_20
.LBB1_19:                               ;   in Loop: Header=BB1_20 Depth=1
	s_add_u32 s14, s14, s33
	s_addc_u32 s15, s15, 0
	v_mov_b64_e32 v[38:39], s[34:35]
	v_cmp_gt_i64_e32 vcc, s[14:15], v[38:39]
	v_lshl_add_u64 v[16:17], v[16:17], 0, s[38:39]
	v_lshl_add_u64 v[18:19], v[18:19], 0, s[38:39]
	;; [unrolled: 1-line block ×4, first 2 shown]
	s_cbranch_vccnz .LBB1_45
.LBB1_20:                               ; =>This Loop Header: Depth=1
                                        ;     Child Loop BB1_31 Depth 2
	v_lshl_add_u64 v[38:39], s[14:15], 0, v[0:1]
	v_lshlrev_b64 v[40:41], 1, v[4:5]
	v_cmp_le_i64_e64 s[0:1], v[38:39], v[40:41]
	s_and_b64 s[2:3], s[4:5], s[0:1]
	v_mov_b64_e32 v[40:41], s[30:31]
	s_mov_b64 s[80:81], 0
	s_and_saveexec_b64 s[6:7], s[2:3]
	s_cbranch_execz .LBB1_28
; %bb.21:                               ;   in Loop: Header=BB1_20 Depth=1
	v_and_b32_e32 v14, 1, v38
	v_cmp_eq_u32_e32 vcc, 1, v14
	v_mov_b64_e32 v[40:41], s[30:31]
	s_and_saveexec_b64 s[2:3], vcc
	s_cbranch_execz .LBB1_23
; %bb.22:                               ;   in Loop: Header=BB1_20 Depth=1
	v_alignbit_b32 v14, v39, v38, 1
	v_mul_lo_u32 v42, v14, s17
	v_mad_u64_u32 v[40:41], s[80:81], v14, s16, 0
	v_lshrrev_b32_e32 v14, 1, v39
	v_mul_lo_u32 v14, v14, s16
	v_add3_u32 v41, v41, v42, v14
	v_lshl_add_u64 v[40:41], v[40:41], 2, v[12:13]
	global_load_dword v40, v[40:41], off
	s_waitcnt vmcnt(0)
	v_ashrrev_i32_e32 v41, 31, v40
.LBB1_23:                               ;   in Loop: Header=BB1_20 Depth=1
	s_or_b64 exec, exec, s[2:3]
	v_cmp_lt_u64_e64 s[2:3], 1, v[38:39]
	s_mov_b64 s[82:83], 0
	s_and_saveexec_b64 s[80:81], s[2:3]
	s_cbranch_execz .LBB1_27
; %bb.24:                               ;   in Loop: Header=BB1_20 Depth=1
	v_mov_b64_e32 v[42:43], s[30:31]
	s_and_saveexec_b64 s[2:3], vcc
	s_cbranch_execz .LBB1_26
; %bb.25:                               ;   in Loop: Header=BB1_20 Depth=1
	v_lshl_add_u64 v[42:43], v[38:39], 0, -2
	v_lshrrev_b32_e32 v14, 31, v43
	v_lshl_add_u64 v[42:43], v[42:43], 0, v[14:15]
	v_ashrrev_i64 v[42:43], 1, v[42:43]
	v_mul_lo_u32 v14, v43, s16
	v_mul_lo_u32 v44, v42, s17
	v_mad_u64_u32 v[42:43], s[82:83], v42, s16, 0
	v_add3_u32 v43, v43, v44, v14
	v_lshl_add_u64 v[42:43], v[42:43], 2, v[12:13]
	global_load_dword v42, v[42:43], off
	s_waitcnt vmcnt(0)
	v_ashrrev_i32_e32 v43, 31, v42
.LBB1_26:                               ;   in Loop: Header=BB1_20 Depth=1
	s_or_b64 exec, exec, s[2:3]
	v_cmp_ne_u64_e32 vcc, v[42:43], v[40:41]
	s_and_b64 s[82:83], vcc, exec
.LBB1_27:                               ;   in Loop: Header=BB1_20 Depth=1
	s_or_b64 exec, exec, s[80:81]
	s_and_b64 s[80:81], s[82:83], exec
.LBB1_28:                               ;   in Loop: Header=BB1_20 Depth=1
	s_or_b64 exec, exec, s[6:7]
	s_andn2_b64 vcc, exec, s[26:27]
	s_cbranch_vccnz .LBB1_19
; %bb.29:                               ;   in Loop: Header=BB1_20 Depth=1
	v_cmp_ge_i64_e32 vcc, s[34:35], v[38:39]
	v_cmp_ne_u64_e64 s[2:3], 0, v[38:39]
	v_mad_u64_u32 v[38:39], s[6:7], s12, v40, v[24:25]
	v_mul_lo_u32 v14, s12, v41
	v_mul_lo_u32 v40, s13, v40
	v_add3_u32 v39, v40, v39, v14
	s_mov_b64 s[82:83], 1
	s_xor_b64 s[84:85], s[0:1], -1
	v_mov_b64_e32 v[40:41], v[22:23]
	v_mov_b64_e32 v[42:43], v[20:21]
	;; [unrolled: 1-line block ×4, first 2 shown]
	s_branch .LBB1_31
.LBB1_30:                               ;   in Loop: Header=BB1_31 Depth=2
	s_or_b64 exec, exec, s[0:1]
	s_add_u32 s82, s82, 1
	s_addc_u32 s83, s83, 0
	v_lshl_add_u64 v[46:47], v[46:47], 0, s[36:37]
	v_lshl_add_u64 v[44:45], v[44:45], 0, s[36:37]
	;; [unrolled: 1-line block ×4, first 2 shown]
	s_cmp_eq_u64 s[10:11], s[82:83]
	v_lshl_add_u64 v[38:39], v[38:39], 0, s[8:9]
	s_cbranch_scc1 .LBB1_19
.LBB1_31:                               ;   Parent Loop BB1_20 Depth=1
                                        ; =>  This Inner Loop Header: Depth=2
	v_cmp_ge_i64_e64 s[0:1], s[82:83], v[6:7]
	s_or_b64 s[0:1], s[84:85], s[0:1]
	s_mov_b64 s[86:87], 0
	s_barrier
	s_and_saveexec_b64 s[6:7], s[0:1]
	s_xor_b64 s[0:1], exec, s[6:7]
; %bb.32:                               ;   in Loop: Header=BB1_31 Depth=2
	s_and_b64 s[86:87], vcc, exec
; %bb.33:                               ;   in Loop: Header=BB1_31 Depth=2
	s_or_saveexec_b64 s[88:89], s[0:1]
	v_mov_b32_e32 v48, 0
	v_mov_b32_e32 v49, 0xfff00000
	s_xor_b64 exec, exec, s[88:89]
	s_cbranch_execz .LBB1_43
; %bb.34:                               ;   in Loop: Header=BB1_31 Depth=2
	v_lshl_add_u64 v[48:49], v[44:45], 0, v[10:11]
	global_load_dwordx2 v[54:55], v[48:49], off
	v_mov_b32_e32 v50, 0
	v_mov_b32_e32 v52, 0
	v_mov_b32_e32 v51, 0xfff00000
	v_mov_b32_e32 v53, 0xfff00000
	s_waitcnt vmcnt(0)
	v_mov_b64_e32 v[48:49], v[54:55]
	s_and_saveexec_b64 s[6:7], s[2:3]
	s_cbranch_execz .LBB1_38
; %bb.35:                               ;   in Loop: Header=BB1_31 Depth=2
	v_lshl_add_u64 v[48:49], v[40:41], 0, v[10:11]
	global_load_dwordx2 v[52:53], v[48:49], off
	v_mov_b64_e32 v[48:49], v[54:55]
	s_waitcnt vmcnt(0)
	v_cmp_gt_f64_e64 s[0:1], v[52:53], v[54:55]
	s_and_saveexec_b64 s[90:91], s[0:1]
; %bb.36:                               ;   in Loop: Header=BB1_31 Depth=2
	v_mov_b64_e32 v[48:49], v[52:53]
; %bb.37:                               ;   in Loop: Header=BB1_31 Depth=2
	s_or_b64 exec, exec, s[90:91]
.LBB1_38:                               ;   in Loop: Header=BB1_31 Depth=2
	s_or_b64 exec, exec, s[6:7]
	s_and_saveexec_b64 s[6:7], s[80:81]
	s_cbranch_execz .LBB1_42
; %bb.39:                               ;   in Loop: Header=BB1_31 Depth=2
	v_lshl_add_u64 v[50:51], v[42:43], 0, v[10:11]
	global_load_dwordx2 v[50:51], v[50:51], off
	s_waitcnt vmcnt(0)
	v_cmp_gt_f64_e64 s[0:1], v[50:51], v[48:49]
	s_and_saveexec_b64 s[90:91], s[0:1]
; %bb.40:                               ;   in Loop: Header=BB1_31 Depth=2
	v_mov_b64_e32 v[48:49], v[50:51]
; %bb.41:                               ;   in Loop: Header=BB1_31 Depth=2
	s_or_b64 exec, exec, s[90:91]
.LBB1_42:                               ;   in Loop: Header=BB1_31 Depth=2
	s_or_b64 exec, exec, s[6:7]
	v_cmp_neq_f64_e64 s[0:1], s[40:41], v[48:49]
	v_mov_b64_e32 v[62:63], s[48:49]
	s_mov_b32 s76, s44
	v_cndmask_b32_e64 v49, 0, v49, s[0:1]
	v_cndmask_b32_e64 v48, 0, v48, s[0:1]
	v_add_f64 v[54:55], v[54:55], -v[48:49]
	v_mul_f64 v[58:59], v[54:55], s[42:43]
	v_rndne_f64_e32 v[58:59], v[58:59]
	v_fma_f64 v[60:61], s[44:45], v[58:59], v[54:55]
	v_fmac_f64_e32 v[60:61], s[46:47], v[58:59]
	v_fma_f64 v[64:65], s[50:51], v[60:61], v[62:63]
	v_fma_f64 v[64:65], v[60:61], v[64:65], s[52:53]
	;; [unrolled: 1-line block ×9, first 2 shown]
	v_fma_f64 v[64:65], v[60:61], v[64:65], 1.0
	v_fma_f64 v[60:61], v[60:61], v[64:65], 1.0
	v_cvt_i32_f64_e32 v14, v[58:59]
	v_ldexp_f64 v[58:59], v[60:61], v14
	v_cmp_nlt_f64_e64 s[0:1], s[68:69], v[54:55]
	v_cmp_ngt_f64_e64 s[6:7], s[70:71], v[54:55]
	v_add_f64 v[52:53], v[52:53], -v[48:49]
	v_cndmask_b32_e64 v14, v56, v59, s[0:1]
	s_and_b64 s[0:1], s[6:7], s[0:1]
	v_cndmask_b32_e64 v54, 0, v58, s[0:1]
	v_mul_f64 v[58:59], v[52:53], s[42:43]
	v_rndne_f64_e32 v[58:59], v[58:59]
	v_fma_f64 v[60:61], s[44:45], v[58:59], v[52:53]
	v_fmac_f64_e32 v[60:61], s[46:47], v[58:59]
	v_fma_f64 v[64:65], s[50:51], v[60:61], v[62:63]
	v_fma_f64 v[64:65], v[60:61], v[64:65], s[52:53]
	;; [unrolled: 1-line block ×9, first 2 shown]
	v_fma_f64 v[64:65], v[60:61], v[64:65], 1.0
	v_cndmask_b32_e64 v55, 0, v14, s[6:7]
	v_fma_f64 v[60:61], v[60:61], v[64:65], 1.0
	v_cvt_i32_f64_e32 v14, v[58:59]
	v_ldexp_f64 v[58:59], v[60:61], v14
	v_cmp_nlt_f64_e64 s[0:1], s[68:69], v[52:53]
	v_cmp_ngt_f64_e64 s[6:7], s[70:71], v[52:53]
	v_add_f64 v[50:51], v[50:51], -v[48:49]
	v_cndmask_b32_e64 v14, v56, v59, s[0:1]
	s_and_b64 s[0:1], s[6:7], s[0:1]
	v_cndmask_b32_e64 v53, 0, v14, s[6:7]
	v_cndmask_b32_e64 v52, 0, v58, s[0:1]
	v_add_f64 v[52:53], v[54:55], v[52:53]
	v_mul_f64 v[54:55], v[50:51], s[42:43]
	v_rndne_f64_e32 v[54:55], v[54:55]
	v_fma_f64 v[58:59], s[44:45], v[54:55], v[50:51]
	v_fmac_f64_e32 v[58:59], s[46:47], v[54:55]
	v_fmac_f64_e32 v[62:63], s[50:51], v[58:59]
	v_fma_f64 v[60:61], v[58:59], v[62:63], s[52:53]
	v_fma_f64 v[60:61], v[58:59], v[60:61], s[54:55]
	;; [unrolled: 1-line block ×8, first 2 shown]
	v_fma_f64 v[60:61], v[58:59], v[60:61], 1.0
	v_fma_f64 v[58:59], v[58:59], v[60:61], 1.0
	v_cvt_i32_f64_e32 v14, v[54:55]
	v_ldexp_f64 v[54:55], v[58:59], v14
	v_cmp_nlt_f64_e64 s[0:1], s[68:69], v[50:51]
	v_cmp_ngt_f64_e64 s[6:7], s[70:71], v[50:51]
	s_mov_b32 s78, s46
	v_cndmask_b32_e64 v14, v56, v55, s[0:1]
	s_and_b64 s[0:1], s[6:7], s[0:1]
	v_cndmask_b32_e64 v51, 0, v14, s[6:7]
	v_cndmask_b32_e64 v50, 0, v54, s[0:1]
	v_add_f64 v[50:51], v[50:51], v[52:53]
	v_frexp_mant_f64_e32 v[52:53], v[50:51]
	v_cmp_gt_f64_e64 s[0:1], s[72:73], v[52:53]
	v_frexp_exp_i32_f64_e32 v14, v[50:51]
	s_or_b64 s[86:87], s[86:87], exec
	v_cndmask_b32_e64 v54, 0, 1, s[0:1]
	v_ldexp_f64 v[52:53], v[52:53], v54
	v_add_f64 v[54:55], v[52:53], 1.0
	v_rcp_f64_e32 v[58:59], v[54:55]
	v_add_f64 v[62:63], v[54:55], -1.0
	v_add_f64 v[60:61], v[52:53], -1.0
	v_add_f64 v[52:53], v[52:53], -v[62:63]
	v_fma_f64 v[62:63], -v[54:55], v[58:59], 1.0
	v_fmac_f64_e32 v[58:59], v[62:63], v[58:59]
	global_load_dwordx2 v[62:63], v[38:39], off
	v_fma_f64 v[64:65], -v[54:55], v[58:59], 1.0
	v_fmac_f64_e32 v[58:59], v[64:65], v[58:59]
	v_mul_f64 v[64:65], v[60:61], v[58:59]
	v_mul_f64 v[66:67], v[54:55], v[64:65]
	v_fma_f64 v[54:55], v[64:65], v[54:55], -v[66:67]
	v_fmac_f64_e32 v[54:55], v[64:65], v[52:53]
	v_add_f64 v[52:53], v[66:67], v[54:55]
	v_add_f64 v[68:69], v[60:61], -v[52:53]
	v_add_f64 v[66:67], v[52:53], -v[66:67]
	;; [unrolled: 1-line block ×5, first 2 shown]
	v_add_f64 v[52:53], v[54:55], v[52:53]
	v_add_f64 v[52:53], v[68:69], v[52:53]
	v_mul_f64 v[52:53], v[58:59], v[52:53]
	v_add_f64 v[54:55], v[64:65], v[52:53]
	v_add_f64 v[58:59], v[54:55], -v[64:65]
	v_add_f64 v[52:53], v[52:53], -v[58:59]
	v_mul_f64 v[58:59], v[54:55], v[54:55]
	v_mov_b64_e32 v[60:61], v[26:27]
	v_fmac_f64_e32 v[60:61], s[74:75], v[58:59]
	v_mov_b64_e32 v[64:65], v[28:29]
	v_fmac_f64_e32 v[64:65], v[58:59], v[60:61]
	;; [unrolled: 2-line block ×6, first 2 shown]
	v_ldexp_f64 v[60:61], v[54:55], 1
	v_mul_f64 v[54:55], v[54:55], v[58:59]
	v_mul_f64 v[54:55], v[54:55], v[64:65]
	v_add_f64 v[58:59], v[60:61], v[54:55]
	v_add_f64 v[60:61], v[58:59], -v[60:61]
	v_ldexp_f64 v[52:53], v[52:53], 1
	v_add_f64 v[54:55], v[54:55], -v[60:61]
	v_add_f64 v[52:53], v[52:53], v[54:55]
	v_add_f64 v[54:55], v[58:59], v[52:53]
	v_subbrev_co_u32_e64 v14, s[0:1], 0, v14, s[0:1]
	v_add_f64 v[58:59], v[54:55], -v[58:59]
	v_add_f64 v[52:53], v[52:53], -v[58:59]
	v_cvt_f64_i32_e32 v[58:59], v14
	v_mul_f64 v[60:61], v[58:59], s[76:77]
	v_fma_f64 v[64:65], v[58:59], s[76:77], -v[60:61]
	v_fmac_f64_e32 v[64:65], s[78:79], v[58:59]
	v_add_f64 v[58:59], v[60:61], v[64:65]
	v_add_f64 v[60:61], v[58:59], -v[60:61]
	v_add_f64 v[60:61], v[64:65], -v[60:61]
	v_add_f64 v[64:65], v[58:59], v[54:55]
	v_add_f64 v[66:67], v[64:65], -v[58:59]
	v_add_f64 v[68:69], v[64:65], -v[66:67]
	;; [unrolled: 1-line block ×4, first 2 shown]
	v_add_f64 v[54:55], v[54:55], v[58:59]
	v_add_f64 v[58:59], v[60:61], v[52:53]
	v_add_f64 v[66:67], v[58:59], -v[60:61]
	v_add_f64 v[68:69], v[58:59], -v[66:67]
	v_add_f64 v[54:55], v[58:59], v[54:55]
	v_add_f64 v[60:61], v[60:61], -v[68:69]
	v_add_f64 v[52:53], v[52:53], -v[66:67]
	v_add_f64 v[58:59], v[64:65], v[54:55]
	v_add_f64 v[52:53], v[52:53], v[60:61]
	v_add_f64 v[60:61], v[58:59], -v[64:65]
	v_add_f64 v[54:55], v[54:55], -v[60:61]
	v_add_f64 v[52:53], v[52:53], v[54:55]
	v_add_f64 v[52:53], v[58:59], v[52:53]
	v_cmp_class_f64_e64 s[0:1], v[50:51], s92
	s_nop 1
	v_cndmask_b32_e64 v14, v52, v50, s[0:1]
	v_cndmask_b32_e64 v52, v53, v51, s[0:1]
	v_mov_b32_e32 v53, 0x7ff80000
	v_cmp_ngt_f64_e64 s[0:1], 0, v[50:51]
	s_nop 1
	v_cndmask_b32_e64 v53, v53, v52, s[0:1]
	v_cmp_nge_f64_e64 s[0:1], 0, v[50:51]
	s_nop 1
	v_cndmask_b32_e64 v52, 0, v14, s[0:1]
	v_mov_b32_e32 v14, 0xfff00000
	v_cmp_neq_f64_e64 s[0:1], 0, v[50:51]
	s_nop 1
	v_cndmask_b32_e64 v53, v14, v53, s[0:1]
	v_add_f64 v[48:49], v[48:49], v[52:53]
	s_waitcnt vmcnt(0)
	v_add_f64 v[48:49], v[62:63], v[48:49]
.LBB1_43:                               ;   in Loop: Header=BB1_31 Depth=2
	s_or_b64 exec, exec, s[88:89]
	s_and_saveexec_b64 s[0:1], s[86:87]
	s_cbranch_execz .LBB1_30
; %bb.44:                               ;   in Loop: Header=BB1_31 Depth=2
	v_lshl_add_u64 v[50:51], v[46:47], 0, v[10:11]
	global_store_dwordx2 v[50:51], v[48:49], off
	s_branch .LBB1_30
.LBB1_45:
	v_cmp_eq_u32_e32 vcc, 0, v0
	s_barrier
	s_and_saveexec_b64 s[2:3], vcc
	s_cbranch_execz .LBB1_49
; %bb.46:
	v_lshl_add_u64 v[0:1], v[6:7], 0, -1
	v_mul_lo_u32 v6, v1, s20
	v_mul_lo_u32 v7, v0, s21
	v_mad_u64_u32 v[0:1], s[0:1], v0, s20, 0
	v_add3_u32 v1, v1, v7, v6
	v_mul_lo_u32 v6, v5, s22
	v_mul_lo_u32 v7, v4, s23
	v_mad_u64_u32 v[10:11], s[0:1], v4, s22, 0
	v_add3_u32 v11, v11, v7, v6
	v_lshl_add_u64 v[6:7], v[8:9], 3, s[24:25]
	v_lshl_add_u64 v[0:1], v[0:1], 3, v[6:7]
	;; [unrolled: 1-line block ×3, first 2 shown]
	global_load_dwordx2 v[6:7], v[6:7], off
	v_cmp_lt_i64_e32 vcc, 0, v[4:5]
	v_mov_b32_e32 v4, 0
	v_mov_b32_e32 v5, 0xfff00000
	s_and_saveexec_b64 s[0:1], vcc
	s_cbranch_execz .LBB1_48
; %bb.47:
	v_lshlrev_b64 v[4:5], 1, v[10:11]
	v_mov_b32_e32 v8, s23
	v_subrev_co_u32_e32 v4, vcc, s22, v4
	s_nop 1
	v_subb_co_u32_e32 v5, vcc, v5, v8, vcc
	v_lshl_add_u64 v[0:1], v[4:5], 3, v[0:1]
	global_load_dwordx2 v[4:5], v[0:1], off
.LBB1_48:
	s_or_b64 exec, exec, s[0:1]
	s_waitcnt vmcnt(0)
	v_cmp_gt_f64_e32 vcc, v[6:7], v[4:5]
	s_mov_b32 s0, 0
	s_mov_b32 s1, 0xfff00000
	v_cndmask_b32_e32 v1, v5, v7, vcc
	v_cndmask_b32_e32 v0, v4, v6, vcc
	v_cmp_neq_f64_e32 vcc, s[0:1], v[0:1]
	s_mov_b32 s8, 0x652b82fe
	s_mov_b32 s9, 0x3ff71547
	v_cndmask_b32_e32 v1, 0, v1, vcc
	v_cndmask_b32_e32 v0, 0, v0, vcc
	v_add_f64 v[6:7], v[6:7], -v[0:1]
	v_mul_f64 v[8:9], v[6:7], s[8:9]
	v_rndne_f64_e32 v[8:9], v[8:9]
	s_mov_b32 s5, 0xbfe62e42
	s_mov_b32 s4, 0xfefa39ef
	;; [unrolled: 1-line block ×3, first 2 shown]
	v_fma_f64 v[10:11], s[4:5], v[8:9], v[6:7]
	s_mov_b32 s7, 0xbc7abc9e
	s_mov_b32 s6, 0x3b39803f
	s_mov_b32 s1, 0x3e928af3
	s_mov_b32 s10, 0x6a5dcb37
	v_fmac_f64_e32 v[10:11], s[6:7], v[8:9]
	s_mov_b32 s11, 0x3e5ade15
	v_mov_b64_e32 v[12:13], s[0:1]
	s_mov_b32 s12, 0x623fde64
	v_fma_f64 v[14:15], s[10:11], v[10:11], v[12:13]
	s_mov_b32 s13, 0x3ec71dee
	s_mov_b32 s14, 0x7c89e6b0
	v_fma_f64 v[14:15], v[10:11], v[14:15], s[12:13]
	s_mov_b32 s15, 0x3efa0199
	;; [unrolled: 3-line block ×8, first 2 shown]
	v_fma_f64 v[14:15], v[10:11], v[14:15], s[30:31]
	v_fma_f64 v[14:15], v[10:11], v[14:15], 1.0
	s_mov_b32 s34, 0
	s_mov_b32 s36, 0
	v_fma_f64 v[10:11], v[10:11], v[14:15], 1.0
	v_cvt_i32_f64_e32 v8, v[8:9]
	s_mov_b32 s35, 0x40900000
	s_mov_b32 s37, 0xc090cc00
	v_ldexp_f64 v[8:9], v[10:11], v8
	v_mov_b32_e32 v14, 0x7ff00000
	v_cmp_nlt_f64_e32 vcc, s[34:35], v[6:7]
	v_cmp_ngt_f64_e64 s[0:1], s[36:37], v[6:7]
	v_add_f64 v[4:5], v[4:5], -v[0:1]
	v_cndmask_b32_e32 v9, v14, v9, vcc
	s_and_b64 vcc, s[0:1], vcc
	v_cndmask_b32_e64 v7, 0, v9, s[0:1]
	v_cndmask_b32_e32 v6, 0, v8, vcc
	v_mul_f64 v[8:9], v[4:5], s[8:9]
	v_rndne_f64_e32 v[8:9], v[8:9]
	v_fma_f64 v[10:11], s[4:5], v[8:9], v[4:5]
	v_fmac_f64_e32 v[10:11], s[6:7], v[8:9]
	v_fmac_f64_e32 v[12:13], s[10:11], v[10:11]
	v_fma_f64 v[12:13], v[10:11], v[12:13], s[12:13]
	v_fma_f64 v[12:13], v[10:11], v[12:13], s[14:15]
	;; [unrolled: 1-line block ×8, first 2 shown]
	v_fma_f64 v[12:13], v[10:11], v[12:13], 1.0
	v_fma_f64 v[10:11], v[10:11], v[12:13], 1.0
	v_cvt_i32_f64_e32 v8, v[8:9]
	v_ldexp_f64 v[8:9], v[10:11], v8
	v_cmp_nlt_f64_e32 vcc, s[34:35], v[4:5]
	v_cmp_ngt_f64_e64 s[0:1], s[36:37], v[4:5]
	s_mov_b32 s5, 0x3fe62e42
	v_cndmask_b32_e32 v9, v14, v9, vcc
	s_and_b64 vcc, s[0:1], vcc
	v_cndmask_b32_e64 v5, 0, v9, s[0:1]
	v_cndmask_b32_e32 v4, 0, v8, vcc
	v_add_f64 v[4:5], v[6:7], v[4:5]
	s_mov_b32 s0, 0x55555555
	v_frexp_mant_f64_e32 v[6:7], v[4:5]
	s_mov_b32 s1, 0x3fe55555
	v_cmp_gt_f64_e32 vcc, s[0:1], v[6:7]
	v_frexp_exp_i32_f64_e32 v8, v[4:5]
	s_mov_b32 s0, 0xbf559e2b
	v_cndmask_b32_e64 v9, 0, 1, vcc
	v_ldexp_f64 v[6:7], v[6:7], v9
	v_subbrev_co_u32_e32 v20, vcc, 0, v8, vcc
	v_add_f64 v[8:9], v[6:7], 1.0
	v_rcp_f64_e32 v[10:11], v[8:9]
	v_add_f64 v[14:15], v[8:9], -1.0
	v_add_f64 v[12:13], v[6:7], -1.0
	v_add_f64 v[6:7], v[6:7], -v[14:15]
	v_fma_f64 v[14:15], -v[8:9], v[10:11], 1.0
	v_fmac_f64_e32 v[10:11], v[14:15], v[10:11]
	v_fma_f64 v[14:15], -v[8:9], v[10:11], 1.0
	v_fmac_f64_e32 v[10:11], v[14:15], v[10:11]
	v_mul_f64 v[14:15], v[12:13], v[10:11]
	v_mul_f64 v[16:17], v[8:9], v[14:15]
	v_fma_f64 v[8:9], v[14:15], v[8:9], -v[16:17]
	v_fmac_f64_e32 v[8:9], v[14:15], v[6:7]
	v_add_f64 v[6:7], v[16:17], v[8:9]
	v_add_f64 v[18:19], v[12:13], -v[6:7]
	v_add_f64 v[16:17], v[6:7], -v[16:17]
	;; [unrolled: 1-line block ×5, first 2 shown]
	v_add_f64 v[6:7], v[8:9], v[6:7]
	v_add_f64 v[6:7], v[18:19], v[6:7]
	v_mul_f64 v[6:7], v[10:11], v[6:7]
	v_add_f64 v[8:9], v[14:15], v[6:7]
	v_add_f64 v[10:11], v[8:9], -v[14:15]
	v_add_f64 v[6:7], v[6:7], -v[10:11]
	v_mul_f64 v[10:11], v[8:9], v[8:9]
	v_mov_b32_e32 v12, 0x6b47b09a
	v_mov_b32_e32 v13, 0x3fc38538
	s_mov_b32 s1, 0x3fc3ab76
	v_fmac_f64_e32 v[12:13], s[0:1], v[10:11]
	v_mov_b32_e32 v14, 0xd7f4df2e
	v_mov_b32_e32 v15, 0x3fc7474d
	v_fmac_f64_e32 v[14:15], v[10:11], v[12:13]
	v_mov_b32_e32 v12, 0x16291751
	v_mov_b32_e32 v13, 0x3fcc71c0
	;; [unrolled: 3-line block ×5, first 2 shown]
	v_fmac_f64_e32 v[14:15], v[10:11], v[12:13]
	v_ldexp_f64 v[12:13], v[8:9], 1
	v_mul_f64 v[8:9], v[8:9], v[10:11]
	v_mul_f64 v[8:9], v[8:9], v[14:15]
	v_add_f64 v[10:11], v[12:13], v[8:9]
	v_add_f64 v[12:13], v[10:11], -v[12:13]
	v_ldexp_f64 v[6:7], v[6:7], 1
	v_add_f64 v[8:9], v[8:9], -v[12:13]
	v_add_f64 v[6:7], v[6:7], v[8:9]
	v_add_f64 v[8:9], v[10:11], v[6:7]
	v_add_f64 v[10:11], v[8:9], -v[10:11]
	v_add_f64 v[6:7], v[6:7], -v[10:11]
	v_cvt_f64_i32_e32 v[10:11], v20
	v_mul_f64 v[12:13], v[10:11], s[4:5]
	v_fma_f64 v[14:15], v[10:11], s[4:5], -v[12:13]
	s_mov_b32 s7, 0x3c7abc9e
	v_fmac_f64_e32 v[14:15], s[6:7], v[10:11]
	v_add_f64 v[10:11], v[12:13], v[14:15]
	v_add_f64 v[12:13], v[10:11], -v[12:13]
	v_add_f64 v[12:13], v[14:15], -v[12:13]
	v_add_f64 v[14:15], v[10:11], v[8:9]
	v_add_f64 v[16:17], v[14:15], -v[10:11]
	v_add_f64 v[18:19], v[14:15], -v[16:17]
	;; [unrolled: 1-line block ×4, first 2 shown]
	v_add_f64 v[8:9], v[8:9], v[10:11]
	v_add_f64 v[10:11], v[12:13], v[6:7]
	v_add_f64 v[16:17], v[10:11], -v[12:13]
	v_add_f64 v[18:19], v[10:11], -v[16:17]
	v_add_f64 v[8:9], v[10:11], v[8:9]
	v_add_f64 v[12:13], v[12:13], -v[18:19]
	v_add_f64 v[6:7], v[6:7], -v[16:17]
	v_add_f64 v[10:11], v[14:15], v[8:9]
	v_add_f64 v[6:7], v[6:7], v[12:13]
	v_add_f64 v[12:13], v[10:11], -v[14:15]
	v_add_f64 v[8:9], v[8:9], -v[12:13]
	v_add_f64 v[6:7], v[6:7], v[8:9]
	s_movk_i32 s0, 0x204
	v_add_f64 v[6:7], v[10:11], v[6:7]
	v_cmp_class_f64_e64 vcc, v[4:5], s0
	v_mov_b32_e32 v8, 0x7ff80000
	v_lshl_add_u64 v[2:3], v[2:3], 3, s[18:19]
	v_cndmask_b32_e32 v6, v6, v4, vcc
	v_cndmask_b32_e32 v7, v7, v5, vcc
	v_cmp_ngt_f64_e32 vcc, 0, v[4:5]
	s_nop 1
	v_cndmask_b32_e32 v7, v8, v7, vcc
	v_cmp_nge_f64_e32 vcc, 0, v[4:5]
	v_mov_b32_e32 v8, 0xfff00000
	s_nop 0
	v_cndmask_b32_e32 v6, 0, v6, vcc
	v_cmp_neq_f64_e32 vcc, 0, v[4:5]
	s_nop 1
	v_cndmask_b32_e32 v7, v8, v7, vcc
	v_add_f64 v[0:1], v[0:1], v[6:7]
	v_xor_b32_e32 v1, 0x80000000, v1
	global_store_dwordx2 v[2:3], v[0:1], off
.LBB1_49:
	s_or_b64 exec, exec, s[2:3]
                                        ; implicit-def: $vgpr0
                                        ; implicit-def: $vgpr2_vgpr3
                                        ; implicit-def: $vgpr4_vgpr5
.LBB1_50:
	s_andn2_saveexec_b64 s[0:1], s[28:29]
	s_cbranch_execz .LBB1_53
; %bb.51:
	v_and_b32_e32 v0, 0x3ff, v0
	v_cmp_eq_u32_e32 vcc, 0, v0
	s_and_b64 exec, exec, vcc
	s_cbranch_execz .LBB1_53
; %bb.52:
	v_lshl_add_u64 v[0:1], v[2:3], 3, s[18:19]
	v_mov_b32_e32 v2, 0x7ff00000
	v_bfrev_b32_e32 v3, 1
	s_waitcnt vmcnt(0)
	v_cmp_eq_u64_e32 vcc, 0, v[4:5]
	s_nop 1
	v_cndmask_b32_e32 v3, v2, v3, vcc
	v_mov_b32_e32 v2, 0
	global_store_dwordx2 v[0:1], v[2:3], off
.LBB1_53:
	s_endpgm
	.section	.rodata,"a",@progbits
	.p2align	6, 0x0
	.amdhsa_kernel _ZN2at6native12_GLOBAL__N_129ctc_loss_log_alpha_gpu_kernelIdiEEvPT_PKS3_PKllPKT0_S8_lS4_llllllS8_lll
		.amdhsa_group_segment_fixed_size 0
		.amdhsa_private_segment_fixed_size 0
		.amdhsa_kernarg_size 400
		.amdhsa_user_sgpr_count 2
		.amdhsa_user_sgpr_dispatch_ptr 0
		.amdhsa_user_sgpr_queue_ptr 0
		.amdhsa_user_sgpr_kernarg_segment_ptr 1
		.amdhsa_user_sgpr_dispatch_id 0
		.amdhsa_user_sgpr_kernarg_preload_length 0
		.amdhsa_user_sgpr_kernarg_preload_offset 0
		.amdhsa_user_sgpr_private_segment_size 0
		.amdhsa_uses_dynamic_stack 0
		.amdhsa_enable_private_segment 0
		.amdhsa_system_sgpr_workgroup_id_x 1
		.amdhsa_system_sgpr_workgroup_id_y 1
		.amdhsa_system_sgpr_workgroup_id_z 0
		.amdhsa_system_sgpr_workgroup_info 0
		.amdhsa_system_vgpr_workitem_id 1
		.amdhsa_next_free_vgpr 70
		.amdhsa_next_free_sgpr 93
		.amdhsa_accum_offset 72
		.amdhsa_reserve_vcc 1
		.amdhsa_float_round_mode_32 0
		.amdhsa_float_round_mode_16_64 0
		.amdhsa_float_denorm_mode_32 3
		.amdhsa_float_denorm_mode_16_64 3
		.amdhsa_dx10_clamp 1
		.amdhsa_ieee_mode 1
		.amdhsa_fp16_overflow 0
		.amdhsa_tg_split 0
		.amdhsa_exception_fp_ieee_invalid_op 0
		.amdhsa_exception_fp_denorm_src 0
		.amdhsa_exception_fp_ieee_div_zero 0
		.amdhsa_exception_fp_ieee_overflow 0
		.amdhsa_exception_fp_ieee_underflow 0
		.amdhsa_exception_fp_ieee_inexact 0
		.amdhsa_exception_int_div_zero 0
	.end_amdhsa_kernel
	.section	.text._ZN2at6native12_GLOBAL__N_129ctc_loss_log_alpha_gpu_kernelIdiEEvPT_PKS3_PKllPKT0_S8_lS4_llllllS8_lll,"axG",@progbits,_ZN2at6native12_GLOBAL__N_129ctc_loss_log_alpha_gpu_kernelIdiEEvPT_PKS3_PKllPKT0_S8_lS4_llllllS8_lll,comdat
.Lfunc_end1:
	.size	_ZN2at6native12_GLOBAL__N_129ctc_loss_log_alpha_gpu_kernelIdiEEvPT_PKS3_PKllPKT0_S8_lS4_llllllS8_lll, .Lfunc_end1-_ZN2at6native12_GLOBAL__N_129ctc_loss_log_alpha_gpu_kernelIdiEEvPT_PKS3_PKllPKT0_S8_lS4_llllllS8_lll
                                        ; -- End function
	.set _ZN2at6native12_GLOBAL__N_129ctc_loss_log_alpha_gpu_kernelIdiEEvPT_PKS3_PKllPKT0_S8_lS4_llllllS8_lll.num_vgpr, 70
	.set _ZN2at6native12_GLOBAL__N_129ctc_loss_log_alpha_gpu_kernelIdiEEvPT_PKS3_PKllPKT0_S8_lS4_llllllS8_lll.num_agpr, 0
	.set _ZN2at6native12_GLOBAL__N_129ctc_loss_log_alpha_gpu_kernelIdiEEvPT_PKS3_PKllPKT0_S8_lS4_llllllS8_lll.numbered_sgpr, 93
	.set _ZN2at6native12_GLOBAL__N_129ctc_loss_log_alpha_gpu_kernelIdiEEvPT_PKS3_PKllPKT0_S8_lS4_llllllS8_lll.num_named_barrier, 0
	.set _ZN2at6native12_GLOBAL__N_129ctc_loss_log_alpha_gpu_kernelIdiEEvPT_PKS3_PKllPKT0_S8_lS4_llllllS8_lll.private_seg_size, 0
	.set _ZN2at6native12_GLOBAL__N_129ctc_loss_log_alpha_gpu_kernelIdiEEvPT_PKS3_PKllPKT0_S8_lS4_llllllS8_lll.uses_vcc, 1
	.set _ZN2at6native12_GLOBAL__N_129ctc_loss_log_alpha_gpu_kernelIdiEEvPT_PKS3_PKllPKT0_S8_lS4_llllllS8_lll.uses_flat_scratch, 0
	.set _ZN2at6native12_GLOBAL__N_129ctc_loss_log_alpha_gpu_kernelIdiEEvPT_PKS3_PKllPKT0_S8_lS4_llllllS8_lll.has_dyn_sized_stack, 0
	.set _ZN2at6native12_GLOBAL__N_129ctc_loss_log_alpha_gpu_kernelIdiEEvPT_PKS3_PKllPKT0_S8_lS4_llllllS8_lll.has_recursion, 0
	.set _ZN2at6native12_GLOBAL__N_129ctc_loss_log_alpha_gpu_kernelIdiEEvPT_PKS3_PKllPKT0_S8_lS4_llllllS8_lll.has_indirect_call, 0
	.section	.AMDGPU.csdata,"",@progbits
; Kernel info:
; codeLenInByte = 5068
; TotalNumSgprs: 99
; NumVgprs: 70
; NumAgprs: 0
; TotalNumVgprs: 70
; ScratchSize: 0
; MemoryBound: 0
; FloatMode: 240
; IeeeMode: 1
; LDSByteSize: 0 bytes/workgroup (compile time only)
; SGPRBlocks: 12
; VGPRBlocks: 8
; NumSGPRsForWavesPerEU: 99
; NumVGPRsForWavesPerEU: 70
; AccumOffset: 72
; Occupancy: 7
; WaveLimiterHint : 1
; COMPUTE_PGM_RSRC2:SCRATCH_EN: 0
; COMPUTE_PGM_RSRC2:USER_SGPR: 2
; COMPUTE_PGM_RSRC2:TRAP_HANDLER: 0
; COMPUTE_PGM_RSRC2:TGID_X_EN: 1
; COMPUTE_PGM_RSRC2:TGID_Y_EN: 1
; COMPUTE_PGM_RSRC2:TGID_Z_EN: 0
; COMPUTE_PGM_RSRC2:TIDIG_COMP_CNT: 1
; COMPUTE_PGM_RSRC3_GFX90A:ACCUM_OFFSET: 17
; COMPUTE_PGM_RSRC3_GFX90A:TG_SPLIT: 0
	.section	.text._ZN2at6native12_GLOBAL__N_129ctc_loss_log_alpha_gpu_kernelIflEEvPT_PKS3_PKllPKT0_S8_lS4_llllllS8_lll,"axG",@progbits,_ZN2at6native12_GLOBAL__N_129ctc_loss_log_alpha_gpu_kernelIflEEvPT_PKS3_PKllPKT0_S8_lS4_llllllS8_lll,comdat
	.globl	_ZN2at6native12_GLOBAL__N_129ctc_loss_log_alpha_gpu_kernelIflEEvPT_PKS3_PKllPKT0_S8_lS4_llllllS8_lll ; -- Begin function _ZN2at6native12_GLOBAL__N_129ctc_loss_log_alpha_gpu_kernelIflEEvPT_PKS3_PKllPKT0_S8_lS4_llllllS8_lll
	.p2align	8
	.type	_ZN2at6native12_GLOBAL__N_129ctc_loss_log_alpha_gpu_kernelIflEEvPT_PKS3_PKllPKT0_S8_lS4_llllllS8_lll,@function
_ZN2at6native12_GLOBAL__N_129ctc_loss_log_alpha_gpu_kernelIflEEvPT_PKS3_PKllPKT0_S8_lS4_llllllS8_lll: ; @_ZN2at6native12_GLOBAL__N_129ctc_loss_log_alpha_gpu_kernelIflEEvPT_PKS3_PKllPKT0_S8_lS4_llllllS8_lll
; %bb.0:
	s_load_dword s2, s[0:1], 0x9c
	s_load_dwordx4 s[16:19], s[0:1], 0x78
	s_add_u32 s34, s0, 0x90
	s_addc_u32 s35, s1, 0
	v_bfe_u32 v1, v0, 10, 10
	s_waitcnt lgkmcnt(0)
	s_lshr_b32 s2, s2, 16
	s_mul_i32 s3, s3, s2
	v_add_u32_e32 v2, s3, v1
	v_mov_b32_e32 v3, 0
	v_cmp_gt_i64_e32 vcc, s[18:19], v[2:3]
	s_and_saveexec_b64 s[2:3], vcc
	s_cbranch_execz .LBB2_53
; %bb.1:
	s_load_dwordx2 s[2:3], s[0:1], 0x10
	s_load_dwordx2 s[4:5], s[0:1], 0x28
	;; [unrolled: 1-line block ×3, first 2 shown]
	v_lshlrev_b64 v[4:5], 3, v[2:3]
	s_waitcnt lgkmcnt(0)
	v_lshl_add_u64 v[6:7], s[2:3], 0, v[4:5]
	global_load_dwordx2 v[6:7], v[6:7], off
	v_lshl_add_u64 v[4:5], s[4:5], 0, v[4:5]
	global_load_dwordx2 v[4:5], v[4:5], off
	s_waitcnt vmcnt(1)
	v_cmp_ne_u64_e32 vcc, 0, v[6:7]
	s_and_saveexec_b64 s[2:3], vcc
	s_xor_b64 s[18:19], exec, s[2:3]
	s_cbranch_execz .LBB2_50
; %bb.2:
	s_load_dwordx2 s[2:3], s[0:1], 0x70
	s_load_dwordx4 s[20:23], s[0:1], 0x60
	v_and_b32_e32 v0, 0x3ff, v0
	s_waitcnt lgkmcnt(0)
	v_lshl_add_u64 v[8:9], v[2:3], 3, s[2:3]
	global_load_dwordx2 v[12:13], v[8:9], off
	s_load_dwordx8 s[8:15], s[0:1], 0x40
	s_load_dwordx4 s[24:27], s[0:1], 0x0
	s_load_dwordx2 s[2:3], s[0:1], 0x20
	s_load_dwordx2 s[28:29], s[0:1], 0x88
	;; [unrolled: 1-line block ×3, first 2 shown]
	s_waitcnt lgkmcnt(0)
	v_mad_u64_u32 v[26:27], s[30:31], s10, v2, 0
	v_mad_u64_u32 v[8:9], s[30:31], s14, v2, 0
	v_mov_b32_e32 v10, v27
	v_mov_b32_e32 v14, v9
	v_mad_u64_u32 v[10:11], s[10:11], s11, v2, v[10:11]
	v_mad_u64_u32 v[14:15], s[10:11], s15, v2, v[14:15]
	s_lshl_b64 s[30:31], s[4:5], 1
	v_cmp_gt_i64_e64 s[4:5], s[4:5], -1
	v_mov_b32_e32 v9, v14
	s_and_b64 vcc, exec, s[4:5]
	v_mov_b32_e32 v27, v10
	v_lshlrev_b64 v[10:11], 2, v[8:9]
	s_waitcnt vmcnt(0)
	v_lshl_add_u64 v[12:13], v[12:13], 3, s[2:3]
	s_cbranch_vccz .LBB2_17
; %bb.3:
	s_mul_i32 s14, s28, s13
	s_mul_hi_u32 s15, s28, s12
	s_load_dword s33, s[34:35], 0xc
	s_add_i32 s14, s15, s14
	s_mul_i32 s15, s29, s12
	v_lshl_add_u64 v[14:15], v[26:27], 2, s[26:27]
	s_add_i32 s15, s14, s15
	s_mul_i32 s14, s28, s12
	v_lshl_add_u64 v[16:17], s[14:15], 2, v[14:15]
	v_mad_u64_u32 v[18:19], s[14:15], s22, v0, 0
	v_mov_b32_e32 v20, v19
	s_waitcnt lgkmcnt(0)
	s_and_b32 s33, s33, 0xffff
	v_mad_u64_u32 v[20:21], s[14:15], s23, v0, v[20:21]
	v_mov_b32_e32 v19, v20
	s_mul_i32 s14, s23, s33
	s_mul_hi_u32 s15, s22, s33
	v_lshl_add_u64 v[18:19], v[18:19], 2, v[10:11]
	s_add_i32 s15, s15, s14
	s_mul_i32 s14, s22, s33
	v_mov_b32_e32 v1, 0
	s_mov_b64 s[10:11], 0
	v_cmp_ne_u64_e64 s[2:3], 0, v[4:5]
	v_lshl_add_u64 v[18:19], s[24:25], 0, v[18:19]
	s_lshl_b64 s[14:15], s[14:15], 2
	v_mov_b64_e32 v[20:21], s[30:31]
	s_branch .LBB2_5
.LBB2_4:                                ;   in Loop: Header=BB2_5 Depth=1
	s_or_b64 exec, exec, s[36:37]
	s_add_u32 s10, s10, s33
	s_addc_u32 s11, s11, 0
	v_cmp_gt_i64_e32 vcc, s[10:11], v[20:21]
	v_lshl_add_u64 v[18:19], v[18:19], 0, s[14:15]
	s_cbranch_vccnz .LBB2_17
.LBB2_5:                                ; =>This Inner Loop Header: Depth=1
	v_lshl_add_u64 v[22:23], v[0:1], 0, s[10:11]
	v_cmp_lt_i64_e32 vcc, 0, v[22:23]
                                        ; implicit-def: $vgpr24
	s_and_saveexec_b64 s[36:37], vcc
	s_xor_b64 s[36:37], exec, s[36:37]
	s_cbranch_execnz .LBB2_8
; %bb.6:                                ;   in Loop: Header=BB2_5 Depth=1
	s_andn2_saveexec_b64 s[36:37], s[36:37]
	s_cbranch_execnz .LBB2_13
.LBB2_7:                                ;   in Loop: Header=BB2_5 Depth=1
	s_or_b64 exec, exec, s[36:37]
	v_cmp_ge_i64_e32 vcc, s[30:31], v[22:23]
	s_and_saveexec_b64 s[36:37], vcc
	s_cbranch_execz .LBB2_4
	s_branch .LBB2_16
.LBB2_8:                                ;   in Loop: Header=BB2_5 Depth=1
	v_cmp_eq_u64_e32 vcc, 1, v[22:23]
	s_waitcnt vmcnt(0)
	v_mov_b32_e32 v24, 0xff800000
	s_and_saveexec_b64 s[38:39], vcc
	s_cbranch_execz .LBB2_12
; %bb.9:                                ;   in Loop: Header=BB2_5 Depth=1
	v_mov_b32_e32 v24, 0xff800000
	s_and_saveexec_b64 s[40:41], s[2:3]
	s_cbranch_execz .LBB2_11
; %bb.10:                               ;   in Loop: Header=BB2_5 Depth=1
	global_load_dwordx2 v[24:25], v[12:13], off
	s_waitcnt vmcnt(0)
	v_mul_lo_u32 v28, v25, s12
	v_mul_lo_u32 v29, v24, s13
	v_mad_u64_u32 v[24:25], s[42:43], v24, s12, 0
	v_add3_u32 v25, v25, v29, v28
	v_lshl_add_u64 v[24:25], v[24:25], 2, v[14:15]
	global_load_dword v24, v[24:25], off
.LBB2_11:                               ;   in Loop: Header=BB2_5 Depth=1
	s_or_b64 exec, exec, s[40:41]
.LBB2_12:                               ;   in Loop: Header=BB2_5 Depth=1
	s_or_b64 exec, exec, s[38:39]
	s_andn2_saveexec_b64 s[36:37], s[36:37]
	s_cbranch_execz .LBB2_7
.LBB2_13:                               ;   in Loop: Header=BB2_5 Depth=1
	v_cmp_eq_u64_e32 vcc, 0, v[22:23]
	s_waitcnt vmcnt(0)
	v_mov_b32_e32 v24, 0xff800000
	s_and_saveexec_b64 s[38:39], vcc
	s_cbranch_execz .LBB2_15
; %bb.14:                               ;   in Loop: Header=BB2_5 Depth=1
	global_load_dword v24, v[16:17], off
.LBB2_15:                               ;   in Loop: Header=BB2_5 Depth=1
	s_or_b64 exec, exec, s[38:39]
	s_or_b64 exec, exec, s[36:37]
	v_cmp_ge_i64_e32 vcc, s[30:31], v[22:23]
	s_and_saveexec_b64 s[36:37], vcc
	s_cbranch_execz .LBB2_4
.LBB2_16:                               ;   in Loop: Header=BB2_5 Depth=1
	s_waitcnt vmcnt(0)
	global_store_dword v[18:19], v24, off
	s_branch .LBB2_4
.LBB2_17:
	s_andn2_b64 vcc, exec, s[4:5]
	v_cmp_lt_i64_e64 s[4:5], 0, v[4:5]
	s_cbranch_vccnz .LBB2_45
; %bb.18:
	s_load_dwordx2 s[10:11], s[0:1], 0x18
	v_mov_b32_e32 v15, 0
	s_load_dword s0, s[34:35], 0xc
	s_lshl_b64 s[36:37], s[20:21], 2
	v_mov_b32_e32 v1, v15
	v_lshl_add_u64 v[22:23], v[0:1], 0, -2
	s_waitcnt vmcnt(0)
	v_mul_lo_u32 v24, s22, v23
	s_waitcnt lgkmcnt(0)
	s_and_b32 s33, s0, 0xffff
	v_mad_u64_u32 v[18:19], s[0:1], s22, v0, 0
	v_mov_b32_e32 v14, v19
	v_mad_u64_u32 v[20:21], s[0:1], s23, v0, v[14:15]
	v_mov_b32_e32 v19, v20
	s_add_u32 s0, s24, s36
	v_lshlrev_b64 v[20:21], 2, v[18:19]
	s_addc_u32 s1, s25, s37
	v_lshl_add_u64 v[18:19], s[0:1], 0, v[20:21]
	s_mul_i32 s0, s23, s33
	s_mul_hi_u32 s1, s22, s33
	s_add_i32 s1, s1, s0
	s_mul_i32 s0, s22, s33
	s_lshl_b64 s[38:39], s[0:1], 2
	v_mul_lo_u32 v14, s23, v22
	v_mad_u64_u32 v[22:23], s[0:1], s22, v22, 0
	v_add3_u32 v23, v23, v24, v14
	v_lshl_add_u64 v[24:25], v[0:1], 0, -1
	v_mul_lo_u32 v14, s23, v24
	v_mul_lo_u32 v28, s22, v25
	v_mad_u64_u32 v[24:25], s[0:1], s22, v24, 0
	s_lshl_b64 s[8:9], s[8:9], 2
	s_add_u32 s0, s26, s8
	v_add3_u32 v25, v25, v28, v14
	s_addc_u32 s1, s27, s9
	v_lshlrev_b64 v[16:17], 1, v[4:5]
	s_mov_b64 s[14:15], 0
	v_cmp_gt_i64_e64 s[34:35], s[10:11], 1
	v_lshl_add_u64 v[20:21], s[24:25], 0, v[20:21]
	v_lshl_add_u64 v[22:23], v[22:23], 2, s[24:25]
	;; [unrolled: 1-line block ×4, first 2 shown]
	s_lshl_b64 s[12:13], s[12:13], 2
	s_mov_b32 s52, 0xff800000
	s_mov_b32 s53, 0x3fb8aa3b
	;; [unrolled: 1-line block ×7, first 2 shown]
	v_mov_b32_e32 v38, 0x7f800000
	v_mov_b32_e32 v39, 0x41b17218
	s_branch .LBB2_20
.LBB2_19:                               ;   in Loop: Header=BB2_20 Depth=1
	s_add_u32 s14, s14, s33
	s_addc_u32 s15, s15, 0
	v_mov_b64_e32 v[28:29], s[30:31]
	v_cmp_gt_i64_e32 vcc, s[14:15], v[28:29]
	v_lshl_add_u64 v[18:19], v[18:19], 0, s[38:39]
	v_lshl_add_u64 v[20:21], v[20:21], 0, s[38:39]
	;; [unrolled: 1-line block ×4, first 2 shown]
	s_cbranch_vccnz .LBB2_45
.LBB2_20:                               ; =>This Loop Header: Depth=1
                                        ;     Child Loop BB2_31 Depth 2
	v_lshl_add_u64 v[28:29], s[14:15], 0, v[0:1]
	v_cmp_le_i64_e64 s[0:1], v[28:29], v[16:17]
	s_and_b64 s[2:3], s[4:5], s[0:1]
	s_waitcnt vmcnt(0)
	v_mov_b64_e32 v[30:31], s[28:29]
	s_mov_b64 s[26:27], 0
	s_and_saveexec_b64 s[40:41], s[2:3]
	s_cbranch_execz .LBB2_28
; %bb.21:                               ;   in Loop: Header=BB2_20 Depth=1
	v_and_b32_e32 v14, 1, v28
	v_cmp_eq_u32_e32 vcc, 1, v14
	v_mov_b64_e32 v[30:31], s[28:29]
	s_and_saveexec_b64 s[2:3], vcc
	s_cbranch_execz .LBB2_23
; %bb.22:                               ;   in Loop: Header=BB2_20 Depth=1
	v_alignbit_b32 v14, v29, v28, 1
	v_mul_lo_u32 v32, v14, s17
	v_mad_u64_u32 v[30:31], s[26:27], v14, s16, 0
	v_lshrrev_b32_e32 v14, 1, v29
	v_mul_lo_u32 v14, v14, s16
	v_add3_u32 v31, v31, v32, v14
	v_lshl_add_u64 v[30:31], v[30:31], 3, v[12:13]
	global_load_dwordx2 v[30:31], v[30:31], off
.LBB2_23:                               ;   in Loop: Header=BB2_20 Depth=1
	s_or_b64 exec, exec, s[2:3]
	v_cmp_lt_u64_e64 s[2:3], 1, v[28:29]
	s_mov_b64 s[42:43], 0
	s_and_saveexec_b64 s[26:27], s[2:3]
	s_cbranch_execz .LBB2_27
; %bb.24:                               ;   in Loop: Header=BB2_20 Depth=1
	v_mov_b64_e32 v[32:33], s[28:29]
	s_and_saveexec_b64 s[2:3], vcc
	s_cbranch_execz .LBB2_26
; %bb.25:                               ;   in Loop: Header=BB2_20 Depth=1
	v_lshl_add_u64 v[32:33], v[28:29], 0, -2
	v_lshrrev_b32_e32 v14, 31, v33
	v_lshl_add_u64 v[32:33], v[32:33], 0, v[14:15]
	v_ashrrev_i64 v[32:33], 1, v[32:33]
	v_mul_lo_u32 v14, v33, s16
	v_mul_lo_u32 v34, v32, s17
	v_mad_u64_u32 v[32:33], s[42:43], v32, s16, 0
	v_add3_u32 v33, v33, v34, v14
	v_lshl_add_u64 v[32:33], v[32:33], 3, v[12:13]
	global_load_dwordx2 v[32:33], v[32:33], off
.LBB2_26:                               ;   in Loop: Header=BB2_20 Depth=1
	s_or_b64 exec, exec, s[2:3]
	s_waitcnt vmcnt(0)
	v_cmp_ne_u64_e32 vcc, v[32:33], v[30:31]
	s_and_b64 s[42:43], vcc, exec
.LBB2_27:                               ;   in Loop: Header=BB2_20 Depth=1
	s_or_b64 exec, exec, s[26:27]
	s_and_b64 s[26:27], s[42:43], exec
.LBB2_28:                               ;   in Loop: Header=BB2_20 Depth=1
	s_or_b64 exec, exec, s[40:41]
	s_andn2_b64 vcc, exec, s[34:35]
	s_cbranch_vccnz .LBB2_19
; %bb.29:                               ;   in Loop: Header=BB2_20 Depth=1
	v_cmp_ge_i64_e32 vcc, s[30:31], v[28:29]
	v_cmp_ne_u64_e64 s[2:3], 0, v[28:29]
	s_waitcnt vmcnt(0)
	v_mad_u64_u32 v[28:29], s[40:41], s12, v30, v[26:27]
	v_mul_lo_u32 v14, s12, v31
	v_mul_lo_u32 v30, s13, v30
	v_add3_u32 v29, v30, v29, v14
	s_mov_b64 s[40:41], 1
	s_xor_b64 s[42:43], s[0:1], -1
	v_mov_b64_e32 v[30:31], v[24:25]
	v_mov_b64_e32 v[32:33], v[22:23]
	;; [unrolled: 1-line block ×4, first 2 shown]
	s_branch .LBB2_31
.LBB2_30:                               ;   in Loop: Header=BB2_31 Depth=2
	s_or_b64 exec, exec, s[0:1]
	s_add_u32 s40, s40, 1
	s_addc_u32 s41, s41, 0
	v_lshl_add_u64 v[36:37], v[36:37], 0, s[36:37]
	v_lshl_add_u64 v[34:35], v[34:35], 0, s[36:37]
	;; [unrolled: 1-line block ×4, first 2 shown]
	s_cmp_eq_u64 s[10:11], s[40:41]
	v_lshl_add_u64 v[28:29], v[28:29], 0, s[8:9]
	s_cbranch_scc1 .LBB2_19
.LBB2_31:                               ;   Parent Loop BB2_20 Depth=1
                                        ; =>  This Inner Loop Header: Depth=2
	v_cmp_ge_i64_e64 s[0:1], s[40:41], v[6:7]
	s_or_b64 s[0:1], s[42:43], s[0:1]
	s_mov_b64 s[44:45], 0
	s_barrier
	s_and_saveexec_b64 s[46:47], s[0:1]
	s_xor_b64 s[0:1], exec, s[46:47]
	s_cbranch_execnz .LBB2_34
; %bb.32:                               ;   in Loop: Header=BB2_31 Depth=2
	s_or_saveexec_b64 s[46:47], s[0:1]
	v_mov_b32_e32 v14, 0xff800000
	s_xor_b64 exec, exec, s[46:47]
	s_cbranch_execnz .LBB2_35
.LBB2_33:                               ;   in Loop: Header=BB2_31 Depth=2
	s_or_b64 exec, exec, s[46:47]
	s_and_saveexec_b64 s[0:1], s[44:45]
	s_cbranch_execz .LBB2_30
	s_branch .LBB2_44
.LBB2_34:                               ;   in Loop: Header=BB2_31 Depth=2
	s_and_b64 s[44:45], vcc, exec
	s_or_saveexec_b64 s[46:47], s[0:1]
	v_mov_b32_e32 v14, 0xff800000
	s_xor_b64 exec, exec, s[46:47]
	s_cbranch_execz .LBB2_33
.LBB2_35:                               ;   in Loop: Header=BB2_31 Depth=2
	v_lshl_add_u64 v[40:41], v[34:35], 0, v[10:11]
	global_load_dword v14, v[40:41], off
	v_mov_b32_e32 v40, 0xff800000
	v_mov_b32_e32 v41, 0xff800000
	s_waitcnt vmcnt(0)
	v_mov_b32_e32 v42, v14
	s_and_saveexec_b64 s[48:49], s[2:3]
	s_cbranch_execz .LBB2_39
; %bb.36:                               ;   in Loop: Header=BB2_31 Depth=2
	v_lshl_add_u64 v[42:43], v[30:31], 0, v[10:11]
	global_load_dword v41, v[42:43], off
	v_mov_b32_e32 v42, v14
	s_waitcnt vmcnt(0)
	v_cmp_gt_f32_e64 s[0:1], v41, v14
	s_and_saveexec_b64 s[50:51], s[0:1]
; %bb.37:                               ;   in Loop: Header=BB2_31 Depth=2
	v_mov_b32_e32 v42, v41
; %bb.38:                               ;   in Loop: Header=BB2_31 Depth=2
	s_or_b64 exec, exec, s[50:51]
.LBB2_39:                               ;   in Loop: Header=BB2_31 Depth=2
	s_or_b64 exec, exec, s[48:49]
	s_and_saveexec_b64 s[48:49], s[26:27]
	s_cbranch_execz .LBB2_43
; %bb.40:                               ;   in Loop: Header=BB2_31 Depth=2
	v_lshl_add_u64 v[44:45], v[32:33], 0, v[10:11]
	global_load_dword v40, v[44:45], off
	s_waitcnt vmcnt(0)
	v_cmp_gt_f32_e64 s[0:1], v40, v42
	s_and_saveexec_b64 s[50:51], s[0:1]
; %bb.41:                               ;   in Loop: Header=BB2_31 Depth=2
	v_mov_b32_e32 v42, v40
; %bb.42:                               ;   in Loop: Header=BB2_31 Depth=2
	s_or_b64 exec, exec, s[50:51]
.LBB2_43:                               ;   in Loop: Header=BB2_31 Depth=2
	s_or_b64 exec, exec, s[48:49]
	global_load_dword v43, v[28:29], off
	v_cmp_neq_f32_e64 s[0:1], s52, v42
	s_or_b64 s[44:45], s[44:45], exec
	s_nop 0
	v_cndmask_b32_e64 v42, 0, v42, s[0:1]
	v_sub_f32_e32 v14, v14, v42
	v_sub_f32_e32 v41, v41, v42
	v_mul_f32_e32 v44, 0x3fb8aa3b, v14
	v_sub_f32_e32 v40, v40, v42
	v_mul_f32_e32 v45, 0x3fb8aa3b, v41
	v_fma_f32 v47, v14, s53, -v44
	v_rndne_f32_e32 v48, v44
	v_mul_f32_e32 v46, 0x3fb8aa3b, v40
	v_fma_f32 v49, v41, s53, -v45
	v_rndne_f32_e32 v50, v45
	v_fmac_f32_e32 v47, 0x32a5705f, v14
	v_sub_f32_e32 v44, v44, v48
	v_fma_f32 v51, v40, s53, -v46
	v_rndne_f32_e32 v52, v46
	v_fmac_f32_e32 v49, 0x32a5705f, v41
	v_sub_f32_e32 v45, v45, v50
	v_add_f32_e32 v44, v44, v47
	v_cvt_i32_f32_e32 v48, v48
	v_fmac_f32_e32 v51, 0x32a5705f, v40
	v_sub_f32_e32 v46, v46, v52
	v_add_f32_e32 v45, v45, v49
	v_exp_f32_e32 v44, v44
	v_cvt_i32_f32_e32 v50, v50
	v_add_f32_e32 v46, v46, v51
	v_exp_f32_e32 v45, v45
	v_cvt_i32_f32_e32 v52, v52
	v_exp_f32_e32 v46, v46
	v_ldexp_f32 v44, v44, v48
	v_cmp_ngt_f32_e64 s[0:1], s54, v14
	v_ldexp_f32 v45, v45, v50
	v_ldexp_f32 v46, v46, v52
	v_cndmask_b32_e64 v44, 0, v44, s[0:1]
	v_cmp_ngt_f32_e64 s[0:1], s54, v41
	s_nop 1
	v_cndmask_b32_e64 v45, 0, v45, s[0:1]
	v_cmp_ngt_f32_e64 s[0:1], s54, v40
	s_nop 1
	v_cndmask_b32_e64 v46, 0, v46, s[0:1]
	v_cmp_nlt_f32_e64 s[0:1], s55, v14
	s_nop 1
	v_cndmask_b32_e64 v14, v38, v44, s[0:1]
	v_cmp_nlt_f32_e64 s[0:1], s55, v41
	;; [unrolled: 3-line block ×3, first 2 shown]
	v_add_f32_e32 v14, v14, v41
	s_nop 0
	v_cndmask_b32_e64 v40, v38, v46, s[0:1]
	v_add_f32_e32 v14, v40, v14
	v_cmp_gt_f32_e64 s[0:1], s57, v14
	s_nop 1
	v_cndmask_b32_e64 v40, 0, 32, s[0:1]
	v_ldexp_f32 v14, v14, v40
	v_log_f32_e32 v14, v14
	v_cndmask_b32_e64 v40, 0, v39, s[0:1]
	v_mul_f32_e32 v41, 0x3f317217, v14
	v_fma_f32 v41, v14, s58, -v41
	v_fmac_f32_e32 v41, 0x3377d1cf, v14
	v_fmac_f32_e32 v41, 0x3f317217, v14
	v_cmp_lt_f32_e64 s[0:1], |v14|, s56
	s_nop 1
	v_cndmask_b32_e64 v14, v14, v41, s[0:1]
	v_sub_f32_e32 v14, v14, v40
	v_add_f32_e32 v14, v42, v14
	s_waitcnt vmcnt(0)
	v_add_f32_e32 v14, v43, v14
	s_or_b64 exec, exec, s[46:47]
	s_and_saveexec_b64 s[0:1], s[44:45]
	s_cbranch_execz .LBB2_30
.LBB2_44:                               ;   in Loop: Header=BB2_31 Depth=2
	v_lshl_add_u64 v[40:41], v[36:37], 0, v[10:11]
	global_store_dword v[40:41], v14, off
	s_branch .LBB2_30
.LBB2_45:
	v_cmp_eq_u32_e32 vcc, 0, v0
	s_barrier
	s_and_saveexec_b64 s[2:3], vcc
	s_cbranch_execz .LBB2_49
; %bb.46:
	v_lshl_add_u64 v[0:1], v[6:7], 0, -1
	v_mul_lo_u32 v6, v1, s20
	v_mul_lo_u32 v7, v0, s21
	v_mad_u64_u32 v[0:1], s[0:1], v0, s20, 0
	v_add3_u32 v1, v1, v7, v6
	v_mul_lo_u32 v10, v5, s22
	v_mul_lo_u32 v11, v4, s23
	v_mad_u64_u32 v[6:7], s[0:1], v4, s22, 0
	v_lshl_add_u64 v[8:9], v[8:9], 2, s[24:25]
	v_add3_u32 v7, v7, v11, v10
	v_lshl_add_u64 v[0:1], v[0:1], 2, v[8:9]
	v_lshl_add_u64 v[8:9], v[6:7], 3, v[0:1]
	global_load_dword v8, v[8:9], off
	v_cmp_lt_i64_e32 vcc, 0, v[4:5]
	v_mov_b32_e32 v4, 0xff800000
	s_and_saveexec_b64 s[0:1], vcc
	s_cbranch_execz .LBB2_48
; %bb.47:
	v_lshlrev_b64 v[4:5], 1, v[6:7]
	v_mov_b32_e32 v6, s23
	v_subrev_co_u32_e32 v4, vcc, s22, v4
	s_nop 1
	v_subb_co_u32_e32 v5, vcc, v5, v6, vcc
	v_lshl_add_u64 v[0:1], v[4:5], 2, v[0:1]
	global_load_dword v4, v[0:1], off
.LBB2_48:
	s_or_b64 exec, exec, s[0:1]
	s_waitcnt vmcnt(0)
	v_cmp_gt_f32_e32 vcc, v8, v4
	s_mov_b32 s0, 0xff800000
	s_mov_b32 s1, 0xc2ce8ed0
	v_cndmask_b32_e32 v0, v4, v8, vcc
	v_cmp_neq_f32_e32 vcc, s0, v0
	s_mov_b32 s0, 0x3fb8aa3b
	s_mov_b32 s4, 0x42b17218
	v_cndmask_b32_e32 v0, 0, v0, vcc
	v_sub_f32_e32 v1, v8, v0
	v_mul_f32_e32 v5, 0x3fb8aa3b, v1
	v_fma_f32 v6, v1, s0, -v5
	v_rndne_f32_e32 v7, v5
	v_fmac_f32_e32 v6, 0x32a5705f, v1
	v_sub_f32_e32 v5, v5, v7
	v_add_f32_e32 v5, v5, v6
	v_exp_f32_e32 v5, v5
	v_cvt_i32_f32_e32 v6, v7
	v_sub_f32_e32 v4, v4, v0
	v_cmp_ngt_f32_e32 vcc, s1, v1
	v_ldexp_f32 v5, v5, v6
	v_mul_f32_e32 v6, 0x3fb8aa3b, v4
	v_fma_f32 v7, v4, s0, -v6
	v_rndne_f32_e32 v8, v6
	v_fmac_f32_e32 v7, 0x32a5705f, v4
	v_sub_f32_e32 v6, v6, v8
	v_add_f32_e32 v6, v6, v7
	v_exp_f32_e32 v6, v6
	v_cvt_i32_f32_e32 v7, v8
	v_cndmask_b32_e32 v5, 0, v5, vcc
	v_mov_b32_e32 v8, 0x7f800000
	v_cmp_nlt_f32_e32 vcc, s4, v1
	s_mov_b32 s0, 0x800000
	s_nop 0
	v_cndmask_b32_e32 v1, v8, v5, vcc
	v_ldexp_f32 v5, v6, v7
	v_cmp_ngt_f32_e32 vcc, s1, v4
	s_mov_b32 s1, 0x3f317217
	s_nop 0
	v_cndmask_b32_e32 v5, 0, v5, vcc
	v_cmp_nlt_f32_e32 vcc, s4, v4
	s_nop 1
	v_cndmask_b32_e32 v4, v8, v5, vcc
	v_add_f32_e32 v1, v1, v4
	v_cmp_gt_f32_e32 vcc, s0, v1
	s_mov_b32 s0, 0x7f800000
	s_nop 0
	v_cndmask_b32_e64 v4, 0, 32, vcc
	v_ldexp_f32 v1, v1, v4
	v_log_f32_e32 v1, v1
	s_nop 0
	v_mul_f32_e32 v4, 0x3f317217, v1
	v_fma_f32 v4, v1, s1, -v4
	v_fmamk_f32 v4, v1, 0x3377d1cf, v4
	v_fmac_f32_e32 v4, 0x3f317217, v1
	v_cmp_lt_f32_e64 s[0:1], |v1|, s0
	s_nop 1
	v_cndmask_b32_e64 v1, v1, v4, s[0:1]
	v_mov_b32_e32 v4, 0x41b17218
	v_cndmask_b32_e32 v4, 0, v4, vcc
	v_sub_f32_e32 v1, v1, v4
	v_add_f32_e32 v0, v0, v1
	v_xor_b32_e32 v4, 0x80000000, v0
	v_lshl_add_u64 v[0:1], v[2:3], 2, s[6:7]
	global_store_dword v[0:1], v4, off
.LBB2_49:
	s_or_b64 exec, exec, s[2:3]
                                        ; implicit-def: $vgpr0
                                        ; implicit-def: $vgpr2_vgpr3
                                        ; implicit-def: $vgpr4_vgpr5
.LBB2_50:
	s_andn2_saveexec_b64 s[0:1], s[18:19]
	s_cbranch_execz .LBB2_53
; %bb.51:
	v_and_b32_e32 v0, 0x3ff, v0
	v_cmp_eq_u32_e32 vcc, 0, v0
	s_and_b64 exec, exec, vcc
	s_cbranch_execz .LBB2_53
; %bb.52:
	v_lshl_add_u64 v[0:1], v[2:3], 2, s[6:7]
	v_mov_b32_e32 v2, 0x7f800000
	v_bfrev_b32_e32 v3, 1
	s_waitcnt vmcnt(0)
	v_cmp_eq_u64_e32 vcc, 0, v[4:5]
	s_nop 1
	v_cndmask_b32_e32 v2, v2, v3, vcc
	global_store_dword v[0:1], v2, off
.LBB2_53:
	s_endpgm
	.section	.rodata,"a",@progbits
	.p2align	6, 0x0
	.amdhsa_kernel _ZN2at6native12_GLOBAL__N_129ctc_loss_log_alpha_gpu_kernelIflEEvPT_PKS3_PKllPKT0_S8_lS4_llllllS8_lll
		.amdhsa_group_segment_fixed_size 0
		.amdhsa_private_segment_fixed_size 0
		.amdhsa_kernarg_size 400
		.amdhsa_user_sgpr_count 2
		.amdhsa_user_sgpr_dispatch_ptr 0
		.amdhsa_user_sgpr_queue_ptr 0
		.amdhsa_user_sgpr_kernarg_segment_ptr 1
		.amdhsa_user_sgpr_dispatch_id 0
		.amdhsa_user_sgpr_kernarg_preload_length 0
		.amdhsa_user_sgpr_kernarg_preload_offset 0
		.amdhsa_user_sgpr_private_segment_size 0
		.amdhsa_uses_dynamic_stack 0
		.amdhsa_enable_private_segment 0
		.amdhsa_system_sgpr_workgroup_id_x 1
		.amdhsa_system_sgpr_workgroup_id_y 1
		.amdhsa_system_sgpr_workgroup_id_z 0
		.amdhsa_system_sgpr_workgroup_info 0
		.amdhsa_system_vgpr_workitem_id 1
		.amdhsa_next_free_vgpr 53
		.amdhsa_next_free_sgpr 59
		.amdhsa_accum_offset 56
		.amdhsa_reserve_vcc 1
		.amdhsa_float_round_mode_32 0
		.amdhsa_float_round_mode_16_64 0
		.amdhsa_float_denorm_mode_32 3
		.amdhsa_float_denorm_mode_16_64 3
		.amdhsa_dx10_clamp 1
		.amdhsa_ieee_mode 1
		.amdhsa_fp16_overflow 0
		.amdhsa_tg_split 0
		.amdhsa_exception_fp_ieee_invalid_op 0
		.amdhsa_exception_fp_denorm_src 0
		.amdhsa_exception_fp_ieee_div_zero 0
		.amdhsa_exception_fp_ieee_overflow 0
		.amdhsa_exception_fp_ieee_underflow 0
		.amdhsa_exception_fp_ieee_inexact 0
		.amdhsa_exception_int_div_zero 0
	.end_amdhsa_kernel
	.section	.text._ZN2at6native12_GLOBAL__N_129ctc_loss_log_alpha_gpu_kernelIflEEvPT_PKS3_PKllPKT0_S8_lS4_llllllS8_lll,"axG",@progbits,_ZN2at6native12_GLOBAL__N_129ctc_loss_log_alpha_gpu_kernelIflEEvPT_PKS3_PKllPKT0_S8_lS4_llllllS8_lll,comdat
.Lfunc_end2:
	.size	_ZN2at6native12_GLOBAL__N_129ctc_loss_log_alpha_gpu_kernelIflEEvPT_PKS3_PKllPKT0_S8_lS4_llllllS8_lll, .Lfunc_end2-_ZN2at6native12_GLOBAL__N_129ctc_loss_log_alpha_gpu_kernelIflEEvPT_PKS3_PKllPKT0_S8_lS4_llllllS8_lll
                                        ; -- End function
	.set _ZN2at6native12_GLOBAL__N_129ctc_loss_log_alpha_gpu_kernelIflEEvPT_PKS3_PKllPKT0_S8_lS4_llllllS8_lll.num_vgpr, 53
	.set _ZN2at6native12_GLOBAL__N_129ctc_loss_log_alpha_gpu_kernelIflEEvPT_PKS3_PKllPKT0_S8_lS4_llllllS8_lll.num_agpr, 0
	.set _ZN2at6native12_GLOBAL__N_129ctc_loss_log_alpha_gpu_kernelIflEEvPT_PKS3_PKllPKT0_S8_lS4_llllllS8_lll.numbered_sgpr, 59
	.set _ZN2at6native12_GLOBAL__N_129ctc_loss_log_alpha_gpu_kernelIflEEvPT_PKS3_PKllPKT0_S8_lS4_llllllS8_lll.num_named_barrier, 0
	.set _ZN2at6native12_GLOBAL__N_129ctc_loss_log_alpha_gpu_kernelIflEEvPT_PKS3_PKllPKT0_S8_lS4_llllllS8_lll.private_seg_size, 0
	.set _ZN2at6native12_GLOBAL__N_129ctc_loss_log_alpha_gpu_kernelIflEEvPT_PKS3_PKllPKT0_S8_lS4_llllllS8_lll.uses_vcc, 1
	.set _ZN2at6native12_GLOBAL__N_129ctc_loss_log_alpha_gpu_kernelIflEEvPT_PKS3_PKllPKT0_S8_lS4_llllllS8_lll.uses_flat_scratch, 0
	.set _ZN2at6native12_GLOBAL__N_129ctc_loss_log_alpha_gpu_kernelIflEEvPT_PKS3_PKllPKT0_S8_lS4_llllllS8_lll.has_dyn_sized_stack, 0
	.set _ZN2at6native12_GLOBAL__N_129ctc_loss_log_alpha_gpu_kernelIflEEvPT_PKS3_PKllPKT0_S8_lS4_llllllS8_lll.has_recursion, 0
	.set _ZN2at6native12_GLOBAL__N_129ctc_loss_log_alpha_gpu_kernelIflEEvPT_PKS3_PKllPKT0_S8_lS4_llllllS8_lll.has_indirect_call, 0
	.section	.AMDGPU.csdata,"",@progbits
; Kernel info:
; codeLenInByte = 2888
; TotalNumSgprs: 65
; NumVgprs: 53
; NumAgprs: 0
; TotalNumVgprs: 53
; ScratchSize: 0
; MemoryBound: 0
; FloatMode: 240
; IeeeMode: 1
; LDSByteSize: 0 bytes/workgroup (compile time only)
; SGPRBlocks: 8
; VGPRBlocks: 6
; NumSGPRsForWavesPerEU: 65
; NumVGPRsForWavesPerEU: 53
; AccumOffset: 56
; Occupancy: 8
; WaveLimiterHint : 1
; COMPUTE_PGM_RSRC2:SCRATCH_EN: 0
; COMPUTE_PGM_RSRC2:USER_SGPR: 2
; COMPUTE_PGM_RSRC2:TRAP_HANDLER: 0
; COMPUTE_PGM_RSRC2:TGID_X_EN: 1
; COMPUTE_PGM_RSRC2:TGID_Y_EN: 1
; COMPUTE_PGM_RSRC2:TGID_Z_EN: 0
; COMPUTE_PGM_RSRC2:TIDIG_COMP_CNT: 1
; COMPUTE_PGM_RSRC3_GFX90A:ACCUM_OFFSET: 13
; COMPUTE_PGM_RSRC3_GFX90A:TG_SPLIT: 0
	.section	.text._ZN2at6native12_GLOBAL__N_129ctc_loss_log_alpha_gpu_kernelIfiEEvPT_PKS3_PKllPKT0_S8_lS4_llllllS8_lll,"axG",@progbits,_ZN2at6native12_GLOBAL__N_129ctc_loss_log_alpha_gpu_kernelIfiEEvPT_PKS3_PKllPKT0_S8_lS4_llllllS8_lll,comdat
	.globl	_ZN2at6native12_GLOBAL__N_129ctc_loss_log_alpha_gpu_kernelIfiEEvPT_PKS3_PKllPKT0_S8_lS4_llllllS8_lll ; -- Begin function _ZN2at6native12_GLOBAL__N_129ctc_loss_log_alpha_gpu_kernelIfiEEvPT_PKS3_PKllPKT0_S8_lS4_llllllS8_lll
	.p2align	8
	.type	_ZN2at6native12_GLOBAL__N_129ctc_loss_log_alpha_gpu_kernelIfiEEvPT_PKS3_PKllPKT0_S8_lS4_llllllS8_lll,@function
_ZN2at6native12_GLOBAL__N_129ctc_loss_log_alpha_gpu_kernelIfiEEvPT_PKS3_PKllPKT0_S8_lS4_llllllS8_lll: ; @_ZN2at6native12_GLOBAL__N_129ctc_loss_log_alpha_gpu_kernelIfiEEvPT_PKS3_PKllPKT0_S8_lS4_llllllS8_lll
; %bb.0:
	s_load_dword s2, s[0:1], 0x9c
	s_load_dwordx4 s[16:19], s[0:1], 0x78
	s_add_u32 s34, s0, 0x90
	s_addc_u32 s35, s1, 0
	v_bfe_u32 v1, v0, 10, 10
	s_waitcnt lgkmcnt(0)
	s_lshr_b32 s2, s2, 16
	s_mul_i32 s3, s3, s2
	v_add_u32_e32 v2, s3, v1
	v_mov_b32_e32 v3, 0
	v_cmp_gt_i64_e32 vcc, s[18:19], v[2:3]
	s_and_saveexec_b64 s[2:3], vcc
	s_cbranch_execz .LBB3_53
; %bb.1:
	s_load_dwordx2 s[2:3], s[0:1], 0x10
	s_load_dwordx2 s[4:5], s[0:1], 0x28
	;; [unrolled: 1-line block ×3, first 2 shown]
	v_lshlrev_b64 v[4:5], 3, v[2:3]
	s_waitcnt lgkmcnt(0)
	v_lshl_add_u64 v[6:7], s[2:3], 0, v[4:5]
	global_load_dwordx2 v[6:7], v[6:7], off
	v_lshl_add_u64 v[4:5], s[4:5], 0, v[4:5]
	global_load_dwordx2 v[4:5], v[4:5], off
	s_waitcnt vmcnt(1)
	v_cmp_ne_u64_e32 vcc, 0, v[6:7]
	s_and_saveexec_b64 s[2:3], vcc
	s_xor_b64 s[18:19], exec, s[2:3]
	s_cbranch_execz .LBB3_50
; %bb.2:
	s_load_dwordx2 s[2:3], s[0:1], 0x70
	s_load_dwordx4 s[20:23], s[0:1], 0x60
	v_and_b32_e32 v0, 0x3ff, v0
	s_waitcnt lgkmcnt(0)
	v_lshl_add_u64 v[8:9], v[2:3], 3, s[2:3]
	global_load_dwordx2 v[12:13], v[8:9], off
	s_load_dwordx8 s[8:15], s[0:1], 0x40
	s_load_dwordx4 s[24:27], s[0:1], 0x0
	s_load_dwordx2 s[2:3], s[0:1], 0x20
	s_load_dwordx2 s[28:29], s[0:1], 0x88
	;; [unrolled: 1-line block ×3, first 2 shown]
	s_waitcnt lgkmcnt(0)
	v_mad_u64_u32 v[26:27], s[30:31], s10, v2, 0
	v_mad_u64_u32 v[8:9], s[30:31], s14, v2, 0
	v_mov_b32_e32 v10, v27
	v_mov_b32_e32 v14, v9
	v_mad_u64_u32 v[10:11], s[10:11], s11, v2, v[10:11]
	v_mad_u64_u32 v[14:15], s[10:11], s15, v2, v[14:15]
	s_lshl_b64 s[30:31], s[4:5], 1
	v_cmp_gt_i64_e64 s[4:5], s[4:5], -1
	v_mov_b32_e32 v9, v14
	s_and_b64 vcc, exec, s[4:5]
	v_mov_b32_e32 v27, v10
	v_lshlrev_b64 v[10:11], 2, v[8:9]
	s_waitcnt vmcnt(0)
	v_lshl_add_u64 v[12:13], v[12:13], 2, s[2:3]
	s_cbranch_vccz .LBB3_17
; %bb.3:
	s_mul_i32 s14, s28, s13
	s_mul_hi_u32 s15, s28, s12
	s_load_dword s33, s[34:35], 0xc
	s_add_i32 s14, s15, s14
	s_mul_i32 s15, s29, s12
	v_lshl_add_u64 v[14:15], v[26:27], 2, s[26:27]
	s_add_i32 s15, s14, s15
	s_mul_i32 s14, s28, s12
	v_lshl_add_u64 v[16:17], s[14:15], 2, v[14:15]
	v_mad_u64_u32 v[18:19], s[14:15], s22, v0, 0
	v_mov_b32_e32 v20, v19
	s_waitcnt lgkmcnt(0)
	s_and_b32 s33, s33, 0xffff
	v_mad_u64_u32 v[20:21], s[14:15], s23, v0, v[20:21]
	v_mov_b32_e32 v19, v20
	s_mul_i32 s14, s23, s33
	s_mul_hi_u32 s15, s22, s33
	v_lshl_add_u64 v[18:19], v[18:19], 2, v[10:11]
	s_add_i32 s15, s15, s14
	s_mul_i32 s14, s22, s33
	v_mov_b32_e32 v1, 0
	s_mov_b64 s[10:11], 0
	v_cmp_ne_u64_e64 s[2:3], 0, v[4:5]
	v_lshl_add_u64 v[18:19], s[24:25], 0, v[18:19]
	s_lshl_b64 s[14:15], s[14:15], 2
	v_mov_b64_e32 v[20:21], s[30:31]
	s_branch .LBB3_5
.LBB3_4:                                ;   in Loop: Header=BB3_5 Depth=1
	s_or_b64 exec, exec, s[36:37]
	s_add_u32 s10, s10, s33
	s_addc_u32 s11, s11, 0
	v_cmp_gt_i64_e32 vcc, s[10:11], v[20:21]
	v_lshl_add_u64 v[18:19], v[18:19], 0, s[14:15]
	s_cbranch_vccnz .LBB3_17
.LBB3_5:                                ; =>This Inner Loop Header: Depth=1
	v_lshl_add_u64 v[22:23], v[0:1], 0, s[10:11]
	v_cmp_lt_i64_e32 vcc, 0, v[22:23]
                                        ; implicit-def: $vgpr24
	s_and_saveexec_b64 s[36:37], vcc
	s_xor_b64 s[36:37], exec, s[36:37]
	s_cbranch_execnz .LBB3_8
; %bb.6:                                ;   in Loop: Header=BB3_5 Depth=1
	s_andn2_saveexec_b64 s[36:37], s[36:37]
	s_cbranch_execnz .LBB3_13
.LBB3_7:                                ;   in Loop: Header=BB3_5 Depth=1
	s_or_b64 exec, exec, s[36:37]
	v_cmp_ge_i64_e32 vcc, s[30:31], v[22:23]
	s_and_saveexec_b64 s[36:37], vcc
	s_cbranch_execz .LBB3_4
	s_branch .LBB3_16
.LBB3_8:                                ;   in Loop: Header=BB3_5 Depth=1
	v_cmp_eq_u64_e32 vcc, 1, v[22:23]
	s_waitcnt vmcnt(0)
	v_mov_b32_e32 v24, 0xff800000
	s_and_saveexec_b64 s[38:39], vcc
	s_cbranch_execz .LBB3_12
; %bb.9:                                ;   in Loop: Header=BB3_5 Depth=1
	v_mov_b32_e32 v24, 0xff800000
	s_and_saveexec_b64 s[40:41], s[2:3]
	s_cbranch_execz .LBB3_11
; %bb.10:                               ;   in Loop: Header=BB3_5 Depth=1
	global_load_dword v24, v[12:13], off
	s_waitcnt vmcnt(0)
	v_ashrrev_i32_e32 v25, 31, v24
	v_mul_lo_u32 v28, s13, v24
	v_mul_lo_u32 v29, s12, v25
	v_mad_u64_u32 v[24:25], s[42:43], s12, v24, 0
	v_add3_u32 v25, v25, v29, v28
	v_lshl_add_u64 v[24:25], v[24:25], 2, v[14:15]
	global_load_dword v24, v[24:25], off
.LBB3_11:                               ;   in Loop: Header=BB3_5 Depth=1
	s_or_b64 exec, exec, s[40:41]
.LBB3_12:                               ;   in Loop: Header=BB3_5 Depth=1
	s_or_b64 exec, exec, s[38:39]
	s_andn2_saveexec_b64 s[36:37], s[36:37]
	s_cbranch_execz .LBB3_7
.LBB3_13:                               ;   in Loop: Header=BB3_5 Depth=1
	v_cmp_eq_u64_e32 vcc, 0, v[22:23]
	s_waitcnt vmcnt(0)
	v_mov_b32_e32 v24, 0xff800000
	s_and_saveexec_b64 s[38:39], vcc
	s_cbranch_execz .LBB3_15
; %bb.14:                               ;   in Loop: Header=BB3_5 Depth=1
	global_load_dword v24, v[16:17], off
.LBB3_15:                               ;   in Loop: Header=BB3_5 Depth=1
	s_or_b64 exec, exec, s[38:39]
	s_or_b64 exec, exec, s[36:37]
	v_cmp_ge_i64_e32 vcc, s[30:31], v[22:23]
	s_and_saveexec_b64 s[36:37], vcc
	s_cbranch_execz .LBB3_4
.LBB3_16:                               ;   in Loop: Header=BB3_5 Depth=1
	s_waitcnt vmcnt(0)
	global_store_dword v[18:19], v24, off
	s_branch .LBB3_4
.LBB3_17:
	s_andn2_b64 vcc, exec, s[4:5]
	v_cmp_lt_i64_e64 s[4:5], 0, v[4:5]
	s_cbranch_vccnz .LBB3_45
; %bb.18:
	s_load_dwordx2 s[10:11], s[0:1], 0x18
	v_mov_b32_e32 v15, 0
	s_load_dword s0, s[34:35], 0xc
	s_lshl_b64 s[36:37], s[20:21], 2
	v_mov_b32_e32 v1, v15
	v_lshl_add_u64 v[22:23], v[0:1], 0, -2
	s_waitcnt vmcnt(0)
	v_mul_lo_u32 v24, s22, v23
	s_waitcnt lgkmcnt(0)
	s_and_b32 s33, s0, 0xffff
	v_mad_u64_u32 v[18:19], s[0:1], s22, v0, 0
	v_mov_b32_e32 v14, v19
	v_mad_u64_u32 v[20:21], s[0:1], s23, v0, v[14:15]
	v_mov_b32_e32 v19, v20
	s_add_u32 s0, s24, s36
	v_lshlrev_b64 v[20:21], 2, v[18:19]
	s_addc_u32 s1, s25, s37
	v_lshl_add_u64 v[18:19], s[0:1], 0, v[20:21]
	s_mul_i32 s0, s23, s33
	s_mul_hi_u32 s1, s22, s33
	s_add_i32 s1, s1, s0
	s_mul_i32 s0, s22, s33
	s_lshl_b64 s[38:39], s[0:1], 2
	v_mul_lo_u32 v14, s23, v22
	v_mad_u64_u32 v[22:23], s[0:1], s22, v22, 0
	v_add3_u32 v23, v23, v24, v14
	v_lshl_add_u64 v[24:25], v[0:1], 0, -1
	v_mul_lo_u32 v14, s23, v24
	v_mul_lo_u32 v28, s22, v25
	v_mad_u64_u32 v[24:25], s[0:1], s22, v24, 0
	s_lshl_b64 s[8:9], s[8:9], 2
	s_add_u32 s0, s26, s8
	v_add3_u32 v25, v25, v28, v14
	s_addc_u32 s1, s27, s9
	v_lshlrev_b64 v[16:17], 1, v[4:5]
	s_mov_b64 s[14:15], 0
	v_cmp_gt_i64_e64 s[34:35], s[10:11], 1
	v_lshl_add_u64 v[20:21], s[24:25], 0, v[20:21]
	v_lshl_add_u64 v[22:23], v[22:23], 2, s[24:25]
	;; [unrolled: 1-line block ×4, first 2 shown]
	s_lshl_b64 s[12:13], s[12:13], 2
	s_mov_b32 s52, 0xff800000
	s_mov_b32 s53, 0x3fb8aa3b
	;; [unrolled: 1-line block ×7, first 2 shown]
	v_mov_b32_e32 v38, 0x7f800000
	v_mov_b32_e32 v39, 0x41b17218
	s_branch .LBB3_20
.LBB3_19:                               ;   in Loop: Header=BB3_20 Depth=1
	s_add_u32 s14, s14, s33
	s_addc_u32 s15, s15, 0
	v_mov_b64_e32 v[28:29], s[30:31]
	v_cmp_gt_i64_e32 vcc, s[14:15], v[28:29]
	v_lshl_add_u64 v[18:19], v[18:19], 0, s[38:39]
	v_lshl_add_u64 v[20:21], v[20:21], 0, s[38:39]
	;; [unrolled: 1-line block ×4, first 2 shown]
	s_cbranch_vccnz .LBB3_45
.LBB3_20:                               ; =>This Loop Header: Depth=1
                                        ;     Child Loop BB3_31 Depth 2
	v_lshl_add_u64 v[28:29], s[14:15], 0, v[0:1]
	v_cmp_le_i64_e64 s[0:1], v[28:29], v[16:17]
	s_and_b64 s[2:3], s[4:5], s[0:1]
	v_mov_b64_e32 v[30:31], s[28:29]
	s_mov_b64 s[26:27], 0
	s_and_saveexec_b64 s[40:41], s[2:3]
	s_cbranch_execz .LBB3_28
; %bb.21:                               ;   in Loop: Header=BB3_20 Depth=1
	v_and_b32_e32 v14, 1, v28
	v_cmp_eq_u32_e32 vcc, 1, v14
	v_mov_b64_e32 v[30:31], s[28:29]
	s_and_saveexec_b64 s[2:3], vcc
	s_cbranch_execz .LBB3_23
; %bb.22:                               ;   in Loop: Header=BB3_20 Depth=1
	v_alignbit_b32 v14, v29, v28, 1
	v_mul_lo_u32 v32, v14, s17
	v_mad_u64_u32 v[30:31], s[26:27], v14, s16, 0
	v_lshrrev_b32_e32 v14, 1, v29
	v_mul_lo_u32 v14, v14, s16
	v_add3_u32 v31, v31, v32, v14
	v_lshl_add_u64 v[30:31], v[30:31], 2, v[12:13]
	global_load_dword v30, v[30:31], off
	s_waitcnt vmcnt(0)
	v_ashrrev_i32_e32 v31, 31, v30
.LBB3_23:                               ;   in Loop: Header=BB3_20 Depth=1
	s_or_b64 exec, exec, s[2:3]
	v_cmp_lt_u64_e64 s[2:3], 1, v[28:29]
	s_mov_b64 s[42:43], 0
	s_and_saveexec_b64 s[26:27], s[2:3]
	s_cbranch_execz .LBB3_27
; %bb.24:                               ;   in Loop: Header=BB3_20 Depth=1
	v_mov_b64_e32 v[32:33], s[28:29]
	s_and_saveexec_b64 s[2:3], vcc
	s_cbranch_execz .LBB3_26
; %bb.25:                               ;   in Loop: Header=BB3_20 Depth=1
	v_lshl_add_u64 v[32:33], v[28:29], 0, -2
	v_lshrrev_b32_e32 v14, 31, v33
	v_lshl_add_u64 v[32:33], v[32:33], 0, v[14:15]
	v_ashrrev_i64 v[32:33], 1, v[32:33]
	v_mul_lo_u32 v14, v33, s16
	v_mul_lo_u32 v34, v32, s17
	v_mad_u64_u32 v[32:33], s[42:43], v32, s16, 0
	v_add3_u32 v33, v33, v34, v14
	v_lshl_add_u64 v[32:33], v[32:33], 2, v[12:13]
	global_load_dword v32, v[32:33], off
	s_waitcnt vmcnt(0)
	v_ashrrev_i32_e32 v33, 31, v32
.LBB3_26:                               ;   in Loop: Header=BB3_20 Depth=1
	s_or_b64 exec, exec, s[2:3]
	v_cmp_ne_u64_e32 vcc, v[32:33], v[30:31]
	s_and_b64 s[42:43], vcc, exec
.LBB3_27:                               ;   in Loop: Header=BB3_20 Depth=1
	s_or_b64 exec, exec, s[26:27]
	s_and_b64 s[26:27], s[42:43], exec
.LBB3_28:                               ;   in Loop: Header=BB3_20 Depth=1
	s_or_b64 exec, exec, s[40:41]
	s_andn2_b64 vcc, exec, s[34:35]
	s_cbranch_vccnz .LBB3_19
; %bb.29:                               ;   in Loop: Header=BB3_20 Depth=1
	v_cmp_ge_i64_e32 vcc, s[30:31], v[28:29]
	v_cmp_ne_u64_e64 s[2:3], 0, v[28:29]
	v_mad_u64_u32 v[28:29], s[40:41], s12, v30, v[26:27]
	v_mul_lo_u32 v14, s12, v31
	v_mul_lo_u32 v30, s13, v30
	v_add3_u32 v29, v30, v29, v14
	s_mov_b64 s[40:41], 1
	s_xor_b64 s[42:43], s[0:1], -1
	v_mov_b64_e32 v[30:31], v[24:25]
	v_mov_b64_e32 v[32:33], v[22:23]
	;; [unrolled: 1-line block ×4, first 2 shown]
	s_branch .LBB3_31
.LBB3_30:                               ;   in Loop: Header=BB3_31 Depth=2
	s_or_b64 exec, exec, s[0:1]
	s_add_u32 s40, s40, 1
	s_addc_u32 s41, s41, 0
	v_lshl_add_u64 v[36:37], v[36:37], 0, s[36:37]
	v_lshl_add_u64 v[34:35], v[34:35], 0, s[36:37]
	;; [unrolled: 1-line block ×4, first 2 shown]
	s_cmp_eq_u64 s[10:11], s[40:41]
	v_lshl_add_u64 v[28:29], v[28:29], 0, s[8:9]
	s_cbranch_scc1 .LBB3_19
.LBB3_31:                               ;   Parent Loop BB3_20 Depth=1
                                        ; =>  This Inner Loop Header: Depth=2
	v_cmp_ge_i64_e64 s[0:1], s[40:41], v[6:7]
	s_or_b64 s[0:1], s[42:43], s[0:1]
	s_mov_b64 s[44:45], 0
	s_barrier
	s_and_saveexec_b64 s[46:47], s[0:1]
	s_xor_b64 s[0:1], exec, s[46:47]
	s_cbranch_execnz .LBB3_34
; %bb.32:                               ;   in Loop: Header=BB3_31 Depth=2
	s_or_saveexec_b64 s[46:47], s[0:1]
	v_mov_b32_e32 v14, 0xff800000
	s_xor_b64 exec, exec, s[46:47]
	s_cbranch_execnz .LBB3_35
.LBB3_33:                               ;   in Loop: Header=BB3_31 Depth=2
	s_or_b64 exec, exec, s[46:47]
	s_and_saveexec_b64 s[0:1], s[44:45]
	s_cbranch_execz .LBB3_30
	s_branch .LBB3_44
.LBB3_34:                               ;   in Loop: Header=BB3_31 Depth=2
	s_and_b64 s[44:45], vcc, exec
	s_or_saveexec_b64 s[46:47], s[0:1]
	v_mov_b32_e32 v14, 0xff800000
	s_xor_b64 exec, exec, s[46:47]
	s_cbranch_execz .LBB3_33
.LBB3_35:                               ;   in Loop: Header=BB3_31 Depth=2
	v_lshl_add_u64 v[40:41], v[34:35], 0, v[10:11]
	global_load_dword v14, v[40:41], off
	v_mov_b32_e32 v40, 0xff800000
	v_mov_b32_e32 v41, 0xff800000
	s_waitcnt vmcnt(0)
	v_mov_b32_e32 v42, v14
	s_and_saveexec_b64 s[48:49], s[2:3]
	s_cbranch_execz .LBB3_39
; %bb.36:                               ;   in Loop: Header=BB3_31 Depth=2
	v_lshl_add_u64 v[42:43], v[30:31], 0, v[10:11]
	global_load_dword v41, v[42:43], off
	v_mov_b32_e32 v42, v14
	s_waitcnt vmcnt(0)
	v_cmp_gt_f32_e64 s[0:1], v41, v14
	s_and_saveexec_b64 s[50:51], s[0:1]
; %bb.37:                               ;   in Loop: Header=BB3_31 Depth=2
	v_mov_b32_e32 v42, v41
; %bb.38:                               ;   in Loop: Header=BB3_31 Depth=2
	s_or_b64 exec, exec, s[50:51]
.LBB3_39:                               ;   in Loop: Header=BB3_31 Depth=2
	s_or_b64 exec, exec, s[48:49]
	s_and_saveexec_b64 s[48:49], s[26:27]
	s_cbranch_execz .LBB3_43
; %bb.40:                               ;   in Loop: Header=BB3_31 Depth=2
	v_lshl_add_u64 v[44:45], v[32:33], 0, v[10:11]
	global_load_dword v40, v[44:45], off
	s_waitcnt vmcnt(0)
	v_cmp_gt_f32_e64 s[0:1], v40, v42
	s_and_saveexec_b64 s[50:51], s[0:1]
; %bb.41:                               ;   in Loop: Header=BB3_31 Depth=2
	v_mov_b32_e32 v42, v40
; %bb.42:                               ;   in Loop: Header=BB3_31 Depth=2
	s_or_b64 exec, exec, s[50:51]
.LBB3_43:                               ;   in Loop: Header=BB3_31 Depth=2
	s_or_b64 exec, exec, s[48:49]
	global_load_dword v43, v[28:29], off
	v_cmp_neq_f32_e64 s[0:1], s52, v42
	s_or_b64 s[44:45], s[44:45], exec
	s_nop 0
	v_cndmask_b32_e64 v42, 0, v42, s[0:1]
	v_sub_f32_e32 v14, v14, v42
	v_sub_f32_e32 v41, v41, v42
	v_mul_f32_e32 v44, 0x3fb8aa3b, v14
	v_sub_f32_e32 v40, v40, v42
	v_mul_f32_e32 v45, 0x3fb8aa3b, v41
	v_fma_f32 v47, v14, s53, -v44
	v_rndne_f32_e32 v48, v44
	v_mul_f32_e32 v46, 0x3fb8aa3b, v40
	v_fma_f32 v49, v41, s53, -v45
	v_rndne_f32_e32 v50, v45
	v_fmac_f32_e32 v47, 0x32a5705f, v14
	v_sub_f32_e32 v44, v44, v48
	v_fma_f32 v51, v40, s53, -v46
	v_rndne_f32_e32 v52, v46
	v_fmac_f32_e32 v49, 0x32a5705f, v41
	v_sub_f32_e32 v45, v45, v50
	v_add_f32_e32 v44, v44, v47
	v_cvt_i32_f32_e32 v48, v48
	v_fmac_f32_e32 v51, 0x32a5705f, v40
	v_sub_f32_e32 v46, v46, v52
	v_add_f32_e32 v45, v45, v49
	v_exp_f32_e32 v44, v44
	v_cvt_i32_f32_e32 v50, v50
	v_add_f32_e32 v46, v46, v51
	v_exp_f32_e32 v45, v45
	v_cvt_i32_f32_e32 v52, v52
	v_exp_f32_e32 v46, v46
	v_ldexp_f32 v44, v44, v48
	v_cmp_ngt_f32_e64 s[0:1], s54, v14
	v_ldexp_f32 v45, v45, v50
	v_ldexp_f32 v46, v46, v52
	v_cndmask_b32_e64 v44, 0, v44, s[0:1]
	v_cmp_ngt_f32_e64 s[0:1], s54, v41
	s_nop 1
	v_cndmask_b32_e64 v45, 0, v45, s[0:1]
	v_cmp_ngt_f32_e64 s[0:1], s54, v40
	s_nop 1
	v_cndmask_b32_e64 v46, 0, v46, s[0:1]
	v_cmp_nlt_f32_e64 s[0:1], s55, v14
	s_nop 1
	v_cndmask_b32_e64 v14, v38, v44, s[0:1]
	v_cmp_nlt_f32_e64 s[0:1], s55, v41
	;; [unrolled: 3-line block ×3, first 2 shown]
	v_add_f32_e32 v14, v14, v41
	s_nop 0
	v_cndmask_b32_e64 v40, v38, v46, s[0:1]
	v_add_f32_e32 v14, v40, v14
	v_cmp_gt_f32_e64 s[0:1], s57, v14
	s_nop 1
	v_cndmask_b32_e64 v40, 0, 32, s[0:1]
	v_ldexp_f32 v14, v14, v40
	v_log_f32_e32 v14, v14
	v_cndmask_b32_e64 v40, 0, v39, s[0:1]
	v_mul_f32_e32 v41, 0x3f317217, v14
	v_fma_f32 v41, v14, s58, -v41
	v_fmac_f32_e32 v41, 0x3377d1cf, v14
	v_fmac_f32_e32 v41, 0x3f317217, v14
	v_cmp_lt_f32_e64 s[0:1], |v14|, s56
	s_nop 1
	v_cndmask_b32_e64 v14, v14, v41, s[0:1]
	v_sub_f32_e32 v14, v14, v40
	v_add_f32_e32 v14, v42, v14
	s_waitcnt vmcnt(0)
	v_add_f32_e32 v14, v43, v14
	s_or_b64 exec, exec, s[46:47]
	s_and_saveexec_b64 s[0:1], s[44:45]
	s_cbranch_execz .LBB3_30
.LBB3_44:                               ;   in Loop: Header=BB3_31 Depth=2
	v_lshl_add_u64 v[40:41], v[36:37], 0, v[10:11]
	global_store_dword v[40:41], v14, off
	s_branch .LBB3_30
.LBB3_45:
	v_cmp_eq_u32_e32 vcc, 0, v0
	s_barrier
	s_and_saveexec_b64 s[2:3], vcc
	s_cbranch_execz .LBB3_49
; %bb.46:
	v_lshl_add_u64 v[0:1], v[6:7], 0, -1
	v_mul_lo_u32 v6, v1, s20
	v_mul_lo_u32 v7, v0, s21
	v_mad_u64_u32 v[0:1], s[0:1], v0, s20, 0
	v_add3_u32 v1, v1, v7, v6
	v_mul_lo_u32 v10, v5, s22
	v_mul_lo_u32 v11, v4, s23
	v_mad_u64_u32 v[6:7], s[0:1], v4, s22, 0
	v_lshl_add_u64 v[8:9], v[8:9], 2, s[24:25]
	v_add3_u32 v7, v7, v11, v10
	v_lshl_add_u64 v[0:1], v[0:1], 2, v[8:9]
	v_lshl_add_u64 v[8:9], v[6:7], 3, v[0:1]
	global_load_dword v8, v[8:9], off
	v_cmp_lt_i64_e32 vcc, 0, v[4:5]
	v_mov_b32_e32 v4, 0xff800000
	s_and_saveexec_b64 s[0:1], vcc
	s_cbranch_execz .LBB3_48
; %bb.47:
	v_lshlrev_b64 v[4:5], 1, v[6:7]
	v_mov_b32_e32 v6, s23
	v_subrev_co_u32_e32 v4, vcc, s22, v4
	s_nop 1
	v_subb_co_u32_e32 v5, vcc, v5, v6, vcc
	v_lshl_add_u64 v[0:1], v[4:5], 2, v[0:1]
	global_load_dword v4, v[0:1], off
.LBB3_48:
	s_or_b64 exec, exec, s[0:1]
	s_waitcnt vmcnt(0)
	v_cmp_gt_f32_e32 vcc, v8, v4
	s_mov_b32 s0, 0xff800000
	s_mov_b32 s1, 0xc2ce8ed0
	v_cndmask_b32_e32 v0, v4, v8, vcc
	v_cmp_neq_f32_e32 vcc, s0, v0
	s_mov_b32 s0, 0x3fb8aa3b
	s_mov_b32 s4, 0x42b17218
	v_cndmask_b32_e32 v0, 0, v0, vcc
	v_sub_f32_e32 v1, v8, v0
	v_mul_f32_e32 v5, 0x3fb8aa3b, v1
	v_fma_f32 v6, v1, s0, -v5
	v_rndne_f32_e32 v7, v5
	v_fmac_f32_e32 v6, 0x32a5705f, v1
	v_sub_f32_e32 v5, v5, v7
	v_add_f32_e32 v5, v5, v6
	v_exp_f32_e32 v5, v5
	v_cvt_i32_f32_e32 v6, v7
	v_sub_f32_e32 v4, v4, v0
	v_cmp_ngt_f32_e32 vcc, s1, v1
	v_ldexp_f32 v5, v5, v6
	v_mul_f32_e32 v6, 0x3fb8aa3b, v4
	v_fma_f32 v7, v4, s0, -v6
	v_rndne_f32_e32 v8, v6
	v_fmac_f32_e32 v7, 0x32a5705f, v4
	v_sub_f32_e32 v6, v6, v8
	v_add_f32_e32 v6, v6, v7
	v_exp_f32_e32 v6, v6
	v_cvt_i32_f32_e32 v7, v8
	v_cndmask_b32_e32 v5, 0, v5, vcc
	v_mov_b32_e32 v8, 0x7f800000
	v_cmp_nlt_f32_e32 vcc, s4, v1
	s_mov_b32 s0, 0x800000
	s_nop 0
	v_cndmask_b32_e32 v1, v8, v5, vcc
	v_ldexp_f32 v5, v6, v7
	v_cmp_ngt_f32_e32 vcc, s1, v4
	s_mov_b32 s1, 0x3f317217
	s_nop 0
	v_cndmask_b32_e32 v5, 0, v5, vcc
	v_cmp_nlt_f32_e32 vcc, s4, v4
	s_nop 1
	v_cndmask_b32_e32 v4, v8, v5, vcc
	v_add_f32_e32 v1, v1, v4
	v_cmp_gt_f32_e32 vcc, s0, v1
	s_mov_b32 s0, 0x7f800000
	s_nop 0
	v_cndmask_b32_e64 v4, 0, 32, vcc
	v_ldexp_f32 v1, v1, v4
	v_log_f32_e32 v1, v1
	s_nop 0
	v_mul_f32_e32 v4, 0x3f317217, v1
	v_fma_f32 v4, v1, s1, -v4
	v_fmamk_f32 v4, v1, 0x3377d1cf, v4
	v_fmac_f32_e32 v4, 0x3f317217, v1
	v_cmp_lt_f32_e64 s[0:1], |v1|, s0
	s_nop 1
	v_cndmask_b32_e64 v1, v1, v4, s[0:1]
	v_mov_b32_e32 v4, 0x41b17218
	v_cndmask_b32_e32 v4, 0, v4, vcc
	v_sub_f32_e32 v1, v1, v4
	v_add_f32_e32 v0, v0, v1
	v_xor_b32_e32 v4, 0x80000000, v0
	v_lshl_add_u64 v[0:1], v[2:3], 2, s[6:7]
	global_store_dword v[0:1], v4, off
.LBB3_49:
	s_or_b64 exec, exec, s[2:3]
                                        ; implicit-def: $vgpr0
                                        ; implicit-def: $vgpr2_vgpr3
                                        ; implicit-def: $vgpr4_vgpr5
.LBB3_50:
	s_andn2_saveexec_b64 s[0:1], s[18:19]
	s_cbranch_execz .LBB3_53
; %bb.51:
	v_and_b32_e32 v0, 0x3ff, v0
	v_cmp_eq_u32_e32 vcc, 0, v0
	s_and_b64 exec, exec, vcc
	s_cbranch_execz .LBB3_53
; %bb.52:
	v_lshl_add_u64 v[0:1], v[2:3], 2, s[6:7]
	v_mov_b32_e32 v2, 0x7f800000
	v_bfrev_b32_e32 v3, 1
	s_waitcnt vmcnt(0)
	v_cmp_eq_u64_e32 vcc, 0, v[4:5]
	s_nop 1
	v_cndmask_b32_e32 v2, v2, v3, vcc
	global_store_dword v[0:1], v2, off
.LBB3_53:
	s_endpgm
	.section	.rodata,"a",@progbits
	.p2align	6, 0x0
	.amdhsa_kernel _ZN2at6native12_GLOBAL__N_129ctc_loss_log_alpha_gpu_kernelIfiEEvPT_PKS3_PKllPKT0_S8_lS4_llllllS8_lll
		.amdhsa_group_segment_fixed_size 0
		.amdhsa_private_segment_fixed_size 0
		.amdhsa_kernarg_size 400
		.amdhsa_user_sgpr_count 2
		.amdhsa_user_sgpr_dispatch_ptr 0
		.amdhsa_user_sgpr_queue_ptr 0
		.amdhsa_user_sgpr_kernarg_segment_ptr 1
		.amdhsa_user_sgpr_dispatch_id 0
		.amdhsa_user_sgpr_kernarg_preload_length 0
		.amdhsa_user_sgpr_kernarg_preload_offset 0
		.amdhsa_user_sgpr_private_segment_size 0
		.amdhsa_uses_dynamic_stack 0
		.amdhsa_enable_private_segment 0
		.amdhsa_system_sgpr_workgroup_id_x 1
		.amdhsa_system_sgpr_workgroup_id_y 1
		.amdhsa_system_sgpr_workgroup_id_z 0
		.amdhsa_system_sgpr_workgroup_info 0
		.amdhsa_system_vgpr_workitem_id 1
		.amdhsa_next_free_vgpr 53
		.amdhsa_next_free_sgpr 59
		.amdhsa_accum_offset 56
		.amdhsa_reserve_vcc 1
		.amdhsa_float_round_mode_32 0
		.amdhsa_float_round_mode_16_64 0
		.amdhsa_float_denorm_mode_32 3
		.amdhsa_float_denorm_mode_16_64 3
		.amdhsa_dx10_clamp 1
		.amdhsa_ieee_mode 1
		.amdhsa_fp16_overflow 0
		.amdhsa_tg_split 0
		.amdhsa_exception_fp_ieee_invalid_op 0
		.amdhsa_exception_fp_denorm_src 0
		.amdhsa_exception_fp_ieee_div_zero 0
		.amdhsa_exception_fp_ieee_overflow 0
		.amdhsa_exception_fp_ieee_underflow 0
		.amdhsa_exception_fp_ieee_inexact 0
		.amdhsa_exception_int_div_zero 0
	.end_amdhsa_kernel
	.section	.text._ZN2at6native12_GLOBAL__N_129ctc_loss_log_alpha_gpu_kernelIfiEEvPT_PKS3_PKllPKT0_S8_lS4_llllllS8_lll,"axG",@progbits,_ZN2at6native12_GLOBAL__N_129ctc_loss_log_alpha_gpu_kernelIfiEEvPT_PKS3_PKllPKT0_S8_lS4_llllllS8_lll,comdat
.Lfunc_end3:
	.size	_ZN2at6native12_GLOBAL__N_129ctc_loss_log_alpha_gpu_kernelIfiEEvPT_PKS3_PKllPKT0_S8_lS4_llllllS8_lll, .Lfunc_end3-_ZN2at6native12_GLOBAL__N_129ctc_loss_log_alpha_gpu_kernelIfiEEvPT_PKS3_PKllPKT0_S8_lS4_llllllS8_lll
                                        ; -- End function
	.set _ZN2at6native12_GLOBAL__N_129ctc_loss_log_alpha_gpu_kernelIfiEEvPT_PKS3_PKllPKT0_S8_lS4_llllllS8_lll.num_vgpr, 53
	.set _ZN2at6native12_GLOBAL__N_129ctc_loss_log_alpha_gpu_kernelIfiEEvPT_PKS3_PKllPKT0_S8_lS4_llllllS8_lll.num_agpr, 0
	.set _ZN2at6native12_GLOBAL__N_129ctc_loss_log_alpha_gpu_kernelIfiEEvPT_PKS3_PKllPKT0_S8_lS4_llllllS8_lll.numbered_sgpr, 59
	.set _ZN2at6native12_GLOBAL__N_129ctc_loss_log_alpha_gpu_kernelIfiEEvPT_PKS3_PKllPKT0_S8_lS4_llllllS8_lll.num_named_barrier, 0
	.set _ZN2at6native12_GLOBAL__N_129ctc_loss_log_alpha_gpu_kernelIfiEEvPT_PKS3_PKllPKT0_S8_lS4_llllllS8_lll.private_seg_size, 0
	.set _ZN2at6native12_GLOBAL__N_129ctc_loss_log_alpha_gpu_kernelIfiEEvPT_PKS3_PKllPKT0_S8_lS4_llllllS8_lll.uses_vcc, 1
	.set _ZN2at6native12_GLOBAL__N_129ctc_loss_log_alpha_gpu_kernelIfiEEvPT_PKS3_PKllPKT0_S8_lS4_llllllS8_lll.uses_flat_scratch, 0
	.set _ZN2at6native12_GLOBAL__N_129ctc_loss_log_alpha_gpu_kernelIfiEEvPT_PKS3_PKllPKT0_S8_lS4_llllllS8_lll.has_dyn_sized_stack, 0
	.set _ZN2at6native12_GLOBAL__N_129ctc_loss_log_alpha_gpu_kernelIfiEEvPT_PKS3_PKllPKT0_S8_lS4_llllllS8_lll.has_recursion, 0
	.set _ZN2at6native12_GLOBAL__N_129ctc_loss_log_alpha_gpu_kernelIfiEEvPT_PKS3_PKllPKT0_S8_lS4_llllllS8_lll.has_indirect_call, 0
	.section	.AMDGPU.csdata,"",@progbits
; Kernel info:
; codeLenInByte = 2896
; TotalNumSgprs: 65
; NumVgprs: 53
; NumAgprs: 0
; TotalNumVgprs: 53
; ScratchSize: 0
; MemoryBound: 0
; FloatMode: 240
; IeeeMode: 1
; LDSByteSize: 0 bytes/workgroup (compile time only)
; SGPRBlocks: 8
; VGPRBlocks: 6
; NumSGPRsForWavesPerEU: 65
; NumVGPRsForWavesPerEU: 53
; AccumOffset: 56
; Occupancy: 8
; WaveLimiterHint : 1
; COMPUTE_PGM_RSRC2:SCRATCH_EN: 0
; COMPUTE_PGM_RSRC2:USER_SGPR: 2
; COMPUTE_PGM_RSRC2:TRAP_HANDLER: 0
; COMPUTE_PGM_RSRC2:TGID_X_EN: 1
; COMPUTE_PGM_RSRC2:TGID_Y_EN: 1
; COMPUTE_PGM_RSRC2:TGID_Z_EN: 0
; COMPUTE_PGM_RSRC2:TIDIG_COMP_CNT: 1
; COMPUTE_PGM_RSRC3_GFX90A:ACCUM_OFFSET: 13
; COMPUTE_PGM_RSRC3_GFX90A:TG_SPLIT: 0
	.section	.text._ZN2at6native12_GLOBAL__N_137ctc_loss_backward_log_beta_gpu_kernelIdlEEvPT_PKS3_PKllPKT0_S8_lllllllS8_lll,"axG",@progbits,_ZN2at6native12_GLOBAL__N_137ctc_loss_backward_log_beta_gpu_kernelIdlEEvPT_PKS3_PKllPKT0_S8_lllllllS8_lll,comdat
	.globl	_ZN2at6native12_GLOBAL__N_137ctc_loss_backward_log_beta_gpu_kernelIdlEEvPT_PKS3_PKllPKT0_S8_lllllllS8_lll ; -- Begin function _ZN2at6native12_GLOBAL__N_137ctc_loss_backward_log_beta_gpu_kernelIdlEEvPT_PKS3_PKllPKT0_S8_lllllllS8_lll
	.p2align	8
	.type	_ZN2at6native12_GLOBAL__N_137ctc_loss_backward_log_beta_gpu_kernelIdlEEvPT_PKS3_PKllPKT0_S8_lllllllS8_lll,@function
_ZN2at6native12_GLOBAL__N_137ctc_loss_backward_log_beta_gpu_kernelIdlEEvPT_PKS3_PKllPKT0_S8_lllllllS8_lll: ; @_ZN2at6native12_GLOBAL__N_137ctc_loss_backward_log_beta_gpu_kernelIdlEEvPT_PKS3_PKllPKT0_S8_lllllllS8_lll
; %bb.0:
	s_load_dword s2, s[0:1], 0x94
	s_load_dwordx4 s[20:23], s[0:1], 0x70
	s_add_u32 s12, s0, 0x88
	s_addc_u32 s13, s1, 0
	v_bfe_u32 v1, v0, 10, 10
	s_waitcnt lgkmcnt(0)
	s_lshr_b32 s2, s2, 16
	s_mul_i32 s3, s3, s2
	v_add_u32_e32 v12, s3, v1
	v_mov_b32_e32 v13, 0
	v_cmp_gt_i64_e32 vcc, s[22:23], v[12:13]
	s_and_saveexec_b64 s[2:3], vcc
	s_cbranch_execz .LBB4_43
; %bb.1:
	s_load_dwordx2 s[2:3], s[0:1], 0x10
	s_waitcnt lgkmcnt(0)
	v_lshl_add_u64 v[2:3], v[12:13], 3, s[2:3]
	global_load_dwordx2 v[2:3], v[2:3], off
	s_waitcnt vmcnt(0)
	v_cmp_ne_u64_e32 vcc, 0, v[2:3]
	s_and_b64 exec, exec, vcc
	s_cbranch_execz .LBB4_43
; %bb.2:
	s_load_dwordx2 s[2:3], s[0:1], 0x28
	s_load_dwordx2 s[4:5], s[0:1], 0x68
	v_lshlrev_b64 v[4:5], 3, v[12:13]
	s_waitcnt lgkmcnt(0)
	v_lshl_add_u64 v[6:7], s[2:3], 0, v[4:5]
	v_lshl_add_u64 v[4:5], s[4:5], 0, v[4:5]
	global_load_dwordx2 v[14:15], v[6:7], off
	global_load_dwordx2 v[8:9], v[4:5], off
	s_load_dwordx8 s[4:11], s[0:1], 0x30
	s_load_dword s2, s[12:13], 0xc
	s_waitcnt lgkmcnt(0)
	s_lshl_b64 s[22:23], s[4:5], 1
	s_and_b32 s33, s2, 0xffff
	s_mov_b32 s2, 0
	s_mov_b32 s3, s23
	s_cmp_lg_u64 s[2:3], 0
	s_cbranch_scc0 .LBB4_44
; %bb.3:
	s_add_u32 s2, s33, 0
	s_addc_u32 s3, 0, 0
	s_xor_b64 s[4:5], s[2:3], 0
	v_cvt_f32_u32_e32 v1, s4
	v_cvt_f32_u32_e32 v4, s5
	s_sub_u32 s14, 0, s4
	s_subb_u32 s15, 0, s5
	v_fmamk_f32 v1, v4, 0x4f800000, v1
	v_rcp_f32_e32 v1, v1
	s_nop 0
	v_mul_f32_e32 v1, 0x5f7ffffc, v1
	v_mul_f32_e32 v4, 0x2f800000, v1
	v_trunc_f32_e32 v4, v4
	v_fmamk_f32 v1, v4, 0xcf800000, v1
	v_cvt_u32_f32_e32 v4, v4
	v_cvt_u32_f32_e32 v1, v1
	v_readfirstlane_b32 s16, v4
	v_readfirstlane_b32 s12, v1
	s_mul_i32 s13, s14, s16
	s_mul_hi_u32 s18, s14, s12
	s_mul_i32 s17, s15, s12
	s_add_i32 s13, s18, s13
	s_add_i32 s13, s13, s17
	s_mul_i32 s19, s14, s12
	s_mul_i32 s18, s12, s13
	s_mul_hi_u32 s24, s12, s19
	s_mul_hi_u32 s17, s12, s13
	s_add_u32 s18, s24, s18
	s_addc_u32 s17, 0, s17
	s_mul_hi_u32 s25, s16, s19
	s_mul_i32 s19, s16, s19
	s_add_u32 s18, s18, s19
	s_mul_hi_u32 s24, s16, s13
	s_addc_u32 s17, s17, s25
	s_addc_u32 s18, s24, 0
	s_mul_i32 s13, s16, s13
	s_add_u32 s13, s17, s13
	s_addc_u32 s17, 0, s18
	s_add_u32 s18, s12, s13
	s_cselect_b64 s[12:13], -1, 0
	s_cmp_lg_u64 s[12:13], 0
	s_addc_u32 s16, s16, s17
	s_mul_i32 s12, s14, s16
	s_mul_hi_u32 s13, s14, s18
	s_add_i32 s12, s13, s12
	s_mul_i32 s15, s15, s18
	s_add_i32 s12, s12, s15
	s_mul_i32 s14, s14, s18
	s_mul_hi_u32 s15, s16, s14
	s_mul_i32 s17, s16, s14
	s_mul_i32 s24, s18, s12
	s_mul_hi_u32 s14, s18, s14
	s_mul_hi_u32 s19, s18, s12
	s_add_u32 s14, s14, s24
	s_addc_u32 s19, 0, s19
	s_add_u32 s14, s14, s17
	s_mul_hi_u32 s13, s16, s12
	s_addc_u32 s14, s19, s15
	s_addc_u32 s13, s13, 0
	s_mul_i32 s12, s16, s12
	s_add_u32 s12, s14, s12
	s_addc_u32 s14, 0, s13
	s_add_u32 s17, s18, s12
	s_cselect_b64 s[12:13], -1, 0
	s_cmp_lg_u64 s[12:13], 0
	s_addc_u32 s16, s16, s14
	s_ashr_i32 s12, s23, 31
	s_add_u32 s14, s22, s12
	s_mov_b32 s13, s12
	s_addc_u32 s15, s23, s12
	s_xor_b64 s[14:15], s[14:15], s[12:13]
	s_mul_i32 s19, s14, s16
	s_mul_hi_u32 s24, s14, s17
	s_mul_hi_u32 s18, s14, s16
	s_add_u32 s19, s24, s19
	s_addc_u32 s18, 0, s18
	s_mul_hi_u32 s25, s15, s17
	s_mul_i32 s17, s15, s17
	s_add_u32 s17, s19, s17
	s_mul_hi_u32 s24, s15, s16
	s_addc_u32 s17, s18, s25
	s_addc_u32 s18, s24, 0
	s_mul_i32 s16, s15, s16
	s_add_u32 s16, s17, s16
	s_addc_u32 s17, 0, s18
	s_mul_i32 s17, s4, s17
	s_mul_hi_u32 s18, s4, s16
	s_add_i32 s17, s18, s17
	s_mul_i32 s18, s5, s16
	s_add_i32 s24, s17, s18
	s_sub_i32 s18, s15, s24
	s_mul_i32 s16, s4, s16
	s_sub_u32 s14, s14, s16
	s_cselect_b64 s[16:17], -1, 0
	s_cmp_lg_u64 s[16:17], 0
	s_subb_u32 s25, s18, s5
	s_sub_u32 s26, s14, s4
	s_cselect_b64 s[18:19], -1, 0
	s_cmp_lg_u64 s[18:19], 0
	s_subb_u32 s27, s25, 0
	s_cmp_ge_u32 s27, s5
	s_cselect_b32 s28, -1, 0
	s_cmp_ge_u32 s26, s4
	s_cselect_b32 s29, -1, 0
	s_cmp_eq_u32 s27, s5
	s_cselect_b32 s28, s29, s28
	s_cmp_lg_u64 s[18:19], 0
	s_subb_u32 s25, s25, s5
	s_sub_u32 s29, s26, s4
	s_cselect_b64 s[18:19], -1, 0
	s_cmp_lg_u64 s[18:19], 0
	s_subb_u32 s18, s25, 0
	s_cmp_lg_u32 s28, 0
	s_cselect_b32 s19, s29, s26
	s_cselect_b32 s18, s18, s27
	s_cmp_lg_u64 s[16:17], 0
	s_subb_u32 s15, s15, s24
	s_cmp_ge_u32 s15, s5
	s_cselect_b32 s16, -1, 0
	s_cmp_ge_u32 s14, s4
	s_cselect_b32 s4, -1, 0
	s_cmp_eq_u32 s15, s5
	s_cselect_b32 s4, s4, s16
	s_cmp_lg_u32 s4, 0
	s_cselect_b32 s5, s18, s15
	s_cselect_b32 s4, s19, s14
	s_xor_b64 s[4:5], s[4:5], s[12:13]
	s_sub_u32 s36, s4, s12
	s_subb_u32 s37, s5, s12
	s_cbranch_execnz .LBB4_5
.LBB4_4:
	v_cvt_f32_u32_e32 v1, s33
	s_sub_i32 s2, 0, s33
	s_mov_b32 s37, 0
	v_rcp_iflag_f32_e32 v1, v1
	s_nop 0
	v_mul_f32_e32 v1, 0x4f7ffffe, v1
	v_cvt_u32_f32_e32 v1, v1
	s_nop 0
	v_readfirstlane_b32 s3, v1
	s_mul_i32 s2, s2, s3
	s_mul_hi_u32 s2, s3, s2
	s_add_i32 s3, s3, s2
	s_mul_hi_u32 s2, s22, s3
	s_mul_i32 s2, s2, s33
	s_sub_i32 s2, s22, s2
	s_sub_i32 s3, s2, s33
	s_cmp_ge_u32 s2, s33
	s_cselect_b32 s2, s3, s2
	s_sub_i32 s3, s2, s33
	s_cmp_ge_u32 s2, s33
	s_cselect_b32 s36, s3, s2
.LBB4_5:
	s_sub_u32 s28, s22, s36
	s_subb_u32 s29, s23, s37
	v_cmp_lt_i64_e64 s[2:3], s[28:29], 0
	s_and_b64 vcc, exec, s[2:3]
	s_cbranch_vccnz .LBB4_43
; %bb.6:
	s_load_dwordx2 s[30:31], s[0:1], 0x80
	s_load_dwordx8 s[12:19], s[0:1], 0x50
	s_load_dwordx4 s[24:27], s[0:1], 0x0
	s_load_dwordx2 s[2:3], s[0:1], 0x20
	v_mad_u64_u32 v[22:23], s[4:5], s8, v12, 0
	v_mov_b32_e32 v4, v23
	v_lshl_add_u64 v[10:11], v[2:3], 0, -1
	v_mad_u64_u32 v[4:5], s[4:5], s9, v12, v[4:5]
	s_waitcnt vmcnt(0) lgkmcnt(0)
	v_lshl_add_u64 v[8:9], v[8:9], 3, s[2:3]
	v_mad_u64_u32 v[16:17], s[2:3], v10, s6, 0
	v_mov_b32_e32 v23, v4
	v_lshlrev_b64 v[4:5], 1, v[14:15]
	v_mul_lo_u32 v13, v11, s6
	v_mul_lo_u32 v18, v10, s7
	s_mul_i32 s2, s30, s11
	s_mul_hi_u32 s3, s30, s10
	v_lshl_add_u64 v[6:7], v[4:5], 0, -1
	v_add3_u32 v17, v17, v18, v13
	v_lshl_add_u64 v[18:19], v[22:23], 3, s[26:27]
	s_add_i32 s2, s3, s2
	s_mul_i32 s3, s31, s10
	v_lshl_add_u64 v[16:17], v[16:17], 3, v[18:19]
	s_add_i32 s3, s2, s3
	s_mul_i32 s2, s30, s10
	v_alignbit_b32 v13, v7, v6, 1
	v_lshl_add_u64 v[26:27], s[2:3], 3, v[16:17]
	v_mul_lo_u32 v20, v13, s21
	v_mad_u64_u32 v[18:19], s[2:3], v13, s20, 0
	v_lshrrev_b32_e32 v13, 1, v7
	v_and_b32_e32 v0, 0x3ff, v0
	v_mov_b32_e32 v1, 0
	v_mul_lo_u32 v13, v13, s20
	v_add3_u32 v19, v19, v20, v13
	v_lshl_add_u64 v[20:21], s[22:23], 0, v[0:1]
	v_mov_b32_e32 v13, s37
	v_subrev_co_u32_e64 v24, s[4:5], s36, v20
	v_lshl_add_u64 v[28:29], v[18:19], 3, v[8:9]
	s_nop 0
	v_subb_co_u32_e64 v25, vcc, v21, v13, s[4:5]
	v_mul_lo_u32 v13, s17, v24
	v_mul_lo_u32 v20, s16, v25
	v_mad_u64_u32 v[18:19], s[2:3], s16, v24, 0
	v_add3_u32 v19, v19, v20, v13
	v_mul_lo_u32 v13, s15, v10
	v_mul_lo_u32 v20, s14, v11
	v_mad_u64_u32 v[30:31], s[2:3], s14, v10, 0
	v_mad_u64_u32 v[32:33], s[2:3], s12, v12, 0
	v_add3_u32 v31, v31, v20, v13
	v_mov_b32_e32 v20, v33
	v_mad_u64_u32 v[12:13], s[2:3], s13, v12, v[20:21]
	s_mul_i32 s2, s17, s33
	s_mul_hi_u32 s3, s16, s33
	v_lshlrev_b64 v[18:19], 3, v[18:19]
	v_mov_b32_e32 v33, v12
	s_add_i32 s3, s3, s2
	s_mul_i32 s2, s16, s33
	v_lshl_add_u64 v[30:31], v[30:31], 3, v[18:19]
	v_lshlrev_b64 v[12:13], 3, v[32:33]
	s_lshl_b64 s[2:3], s[2:3], 3
	v_sub_co_u32_e32 v32, vcc, v4, v0
	v_lshl_add_u64 v[30:31], v[30:31], 0, v[12:13]
	s_sub_u32 s12, 0, s2
	v_subbrev_co_u32_e32 v33, vcc, 0, v5, vcc
	v_lshl_add_u64 v[30:31], s[24:25], 0, v[30:31]
	s_subb_u32 s13, 0, s3
	v_lshl_add_u64 v[34:35], v[32:33], 0, -1
	s_mov_b64 s[2:3], s[28:29]
	s_branch .LBB4_8
.LBB4_7:                                ;   in Loop: Header=BB4_8 Depth=1
	s_or_b64 exec, exec, s[8:9]
	s_sub_u32 s2, s2, s33
	s_subb_u32 s3, s3, 0
	v_cmp_lt_i64_e64 s[8:9], s[2:3], 0
	v_lshl_add_u64 v[30:31], v[30:31], 0, s[12:13]
	s_and_b64 vcc, exec, s[8:9]
	s_cbranch_vccnz .LBB4_16
.LBB4_8:                                ; =>This Inner Loop Header: Depth=1
	v_cmp_ne_u64_e32 vcc, s[2:3], v[32:33]
                                        ; implicit-def: $vgpr36_vgpr37
	s_and_saveexec_b64 s[8:9], vcc
	s_xor_b64 s[8:9], exec, s[8:9]
	s_cbranch_execz .LBB4_12
; %bb.9:                                ;   in Loop: Header=BB4_8 Depth=1
	s_waitcnt vmcnt(0)
	v_mov_b32_e32 v36, 0
	v_cmp_eq_u64_e32 vcc, s[2:3], v[34:35]
	v_mov_b32_e32 v37, 0xfff00000
	s_and_saveexec_b64 s[18:19], vcc
	s_cbranch_execz .LBB4_11
; %bb.10:                               ;   in Loop: Header=BB4_8 Depth=1
	global_load_dwordx2 v[36:37], v[28:29], off
	s_waitcnt vmcnt(0)
	v_mul_lo_u32 v20, v37, s10
	v_mul_lo_u32 v38, v36, s11
	v_mad_u64_u32 v[36:37], s[34:35], v36, s10, 0
	v_add3_u32 v37, v37, v38, v20
	v_lshl_add_u64 v[36:37], v[36:37], 3, v[16:17]
	global_load_dwordx2 v[36:37], v[36:37], off
.LBB4_11:                               ;   in Loop: Header=BB4_8 Depth=1
	s_or_b64 exec, exec, s[18:19]
.LBB4_12:                               ;   in Loop: Header=BB4_8 Depth=1
	s_andn2_saveexec_b64 s[8:9], s[8:9]
	s_cbranch_execz .LBB4_14
; %bb.13:                               ;   in Loop: Header=BB4_8 Depth=1
	global_load_dwordx2 v[36:37], v[26:27], off
.LBB4_14:                               ;   in Loop: Header=BB4_8 Depth=1
	s_or_b64 exec, exec, s[8:9]
	v_lshl_add_u64 v[38:39], v[0:1], 0, s[2:3]
	v_cmp_ge_i64_e32 vcc, s[22:23], v[38:39]
	s_and_saveexec_b64 s[8:9], vcc
	s_cbranch_execz .LBB4_7
; %bb.15:                               ;   in Loop: Header=BB4_8 Depth=1
	s_waitcnt vmcnt(0)
	global_store_dwordx2 v[30:31], v[36:37], off
	s_branch .LBB4_7
.LBB4_16:
	s_load_dwordx2 s[8:9], s[0:1], 0x18
	v_cmp_lt_i64_e64 s[0:1], 0, v[14:15]
	v_cmp_ne_u64_e64 s[2:3], 0, v[14:15]
	v_lshl_add_u64 v[26:27], v[24:25], 3, 8
	v_mul_lo_u32 v20, s16, v27
	s_waitcnt lgkmcnt(0)
	s_add_u32 s18, s8, -2
	s_addc_u32 s19, s9, -1
	s_mul_hi_u32 s34, s14, s18
	s_mul_i32 s36, s14, s19
	s_mul_i32 s35, s15, s18
	s_add_i32 s34, s34, s36
	s_add_i32 s35, s34, s35
	s_mul_i32 s34, s14, s18
	s_lshl_b64 s[34:35], s[34:35], 3
	s_add_u32 s34, s24, s34
	s_addc_u32 s35, s25, s35
	v_lshl_add_u64 v[14:15], s[34:35], 0, v[18:19]
	s_lshl_b64 s[34:35], s[14:15], 3
	s_sub_u32 s34, 0, s34
	s_subb_u32 s35, 0, s35
	s_add_u32 s36, s8, -1
	s_addc_u32 s38, s9, -1
	s_mul_i32 s38, s14, s38
	s_mul_hi_u32 s39, s14, s36
	s_add_i32 s38, s39, s38
	s_mul_i32 s15, s15, s36
	s_add_i32 s15, s38, s15
	s_mul_i32 s14, s14, s36
	s_lshl_b64 s[14:15], s[14:15], 3
	s_add_u32 s14, s24, s14
	s_addc_u32 s15, s25, s15
	v_mov_b64_e32 v[16:17], s[14:15]
	v_mad_u64_u32 v[16:17], s[24:25], s16, v26, v[16:17]
	v_mul_lo_u32 v25, s17, v26
	v_add3_u32 v17, v25, v17, v20
	v_mov_b32_e32 v20, s37
	v_subb_co_u32_e64 v25, vcc, v21, v20, s[4:5]
	v_lshl_add_u64 v[20:21], v[24:25], 0, 2
	v_mul_lo_u32 v24, s17, v20
	v_mul_lo_u32 v25, s16, v21
	v_mad_u64_u32 v[20:21], s[4:5], s16, v20, 0
	s_mul_i32 s4, s6, s19
	s_mul_hi_u32 s5, s6, s18
	s_add_i32 s4, s5, s4
	s_mul_i32 s5, s7, s18
	s_add_i32 s5, s4, s5
	s_mul_i32 s4, s6, s18
	s_lshl_b64 s[4:5], s[4:5], 3
	s_add_u32 s4, s26, s4
	s_addc_u32 s5, s27, s5
	v_add3_u32 v21, v21, v25, v24
	v_lshl_add_u64 v[22:23], v[22:23], 3, s[4:5]
	s_lshl_b64 s[10:11], s[10:11], 3
	s_lshl_b64 s[4:5], s[6:7], 3
	v_lshl_add_u64 v[18:19], s[14:15], 0, v[18:19]
	v_lshl_add_u64 v[20:21], v[20:21], 3, s[14:15]
	s_sub_u32 s14, 0, s4
	s_mov_b32 s24, 0
	s_mov_b32 s26, 0x652b82fe
	;; [unrolled: 1-line block ×18, first 2 shown]
	s_subb_u32 s15, 0, s5
	v_cmp_gt_i64_e64 s[16:17], s[8:9], 1
	s_mov_b32 s25, 0xfff00000
	s_mov_b32 s27, 0x3ff71547
	;; [unrolled: 1-line block ×20, first 2 shown]
	s_movk_i32 s86, 0x204
	v_mov_b32_e32 v54, 0x7ff00000
	v_mov_b32_e32 v24, 0x6b47b09a
	;; [unrolled: 1-line block ×14, first 2 shown]
	s_branch .LBB4_18
.LBB4_17:                               ;   in Loop: Header=BB4_18 Depth=1
	s_sub_u32 s28, s28, s33
	s_subb_u32 s29, s29, 0
	v_cmp_lt_i64_e64 s[4:5], s[28:29], 0
	v_lshl_add_u64 v[14:15], v[14:15], 0, s[12:13]
	v_lshl_add_u64 v[16:17], v[16:17], 0, s[12:13]
	;; [unrolled: 1-line block ×4, first 2 shown]
	s_and_b64 vcc, exec, s[4:5]
	s_cbranch_vccnz .LBB4_43
.LBB4_18:                               ; =>This Loop Header: Depth=1
                                        ;     Child Loop BB4_29 Depth 2
	s_waitcnt vmcnt(0)
	v_lshl_add_u64 v[36:37], s[28:29], 0, v[0:1]
	v_cmp_le_i64_e64 s[6:7], v[36:37], v[4:5]
	s_and_b64 s[4:5], s[0:1], s[6:7]
	v_mov_b64_e32 v[38:39], s[30:31]
	s_mov_b64 s[72:73], 0
	s_and_saveexec_b64 s[8:9], s[4:5]
	s_cbranch_execz .LBB4_26
; %bb.19:                               ;   in Loop: Header=BB4_18 Depth=1
	v_and_b32_e32 v38, 1, v36
	v_cmp_eq_u32_e32 vcc, 1, v38
	v_mov_b64_e32 v[38:39], s[30:31]
	s_and_saveexec_b64 s[4:5], vcc
	s_cbranch_execz .LBB4_21
; %bb.20:                               ;   in Loop: Header=BB4_18 Depth=1
	v_alignbit_b32 v38, v37, v36, 1
	v_lshrrev_b32_e32 v41, 1, v37
	v_mul_lo_u32 v40, v38, s21
	v_mad_u64_u32 v[38:39], s[72:73], v38, s20, 0
	v_mul_lo_u32 v41, v41, s20
	v_add3_u32 v39, v39, v40, v41
	v_lshl_add_u64 v[38:39], v[38:39], 3, v[8:9]
	global_load_dwordx2 v[38:39], v[38:39], off
.LBB4_21:                               ;   in Loop: Header=BB4_18 Depth=1
	s_or_b64 exec, exec, s[4:5]
	v_cmp_lt_i64_e64 s[4:5], v[36:37], v[6:7]
	s_mov_b64 s[74:75], 0
	s_and_saveexec_b64 s[72:73], s[4:5]
	s_cbranch_execz .LBB4_25
; %bb.22:                               ;   in Loop: Header=BB4_18 Depth=1
	v_mov_b64_e32 v[40:41], s[30:31]
	s_and_saveexec_b64 s[4:5], vcc
	s_cbranch_execz .LBB4_24
; %bb.23:                               ;   in Loop: Header=BB4_18 Depth=1
	v_lshl_add_u64 v[40:41], v[36:37], 0, 2
	v_alignbit_b32 v40, v41, v40, 1
	v_mul_lo_u32 v44, v40, s21
	v_mad_u64_u32 v[42:43], s[74:75], v40, s20, 0
	v_lshrrev_b32_e32 v40, 1, v41
	v_mul_lo_u32 v40, v40, s20
	v_add3_u32 v43, v43, v44, v40
	v_lshl_add_u64 v[40:41], v[42:43], 3, v[8:9]
	global_load_dwordx2 v[40:41], v[40:41], off
.LBB4_24:                               ;   in Loop: Header=BB4_18 Depth=1
	s_or_b64 exec, exec, s[4:5]
	s_waitcnt vmcnt(0)
	v_cmp_ne_u64_e32 vcc, v[40:41], v[38:39]
	s_and_b64 s[74:75], vcc, exec
.LBB4_25:                               ;   in Loop: Header=BB4_18 Depth=1
	s_or_b64 exec, exec, s[72:73]
	s_and_b64 s[72:73], s[74:75], exec
.LBB4_26:                               ;   in Loop: Header=BB4_18 Depth=1
	s_or_b64 exec, exec, s[8:9]
	s_andn2_b64 vcc, exec, s[16:17]
	s_cbranch_vccnz .LBB4_17
; %bb.27:                               ;   in Loop: Header=BB4_18 Depth=1
	v_cmp_gt_i64_e64 s[4:5], 1, v[36:37]
	s_or_b64 s[8:9], s[2:3], s[4:5]
	v_cmp_lt_i64_e32 vcc, s[22:23], v[36:37]
	v_cmp_lt_i64_e64 s[4:5], v[36:37], v[4:5]
	s_and_b64 s[74:75], s[8:9], s[6:7]
	s_waitcnt vmcnt(0)
	v_mad_u64_u32 v[36:37], s[8:9], s10, v38, v[22:23]
	v_mul_lo_u32 v39, s10, v39
	v_mul_lo_u32 v38, s11, v38
	v_add3_u32 v37, v38, v37, v39
	s_xor_b64 s[76:77], s[6:7], -1
	v_mov_b64_e32 v[38:39], v[20:21]
	v_mov_b64_e32 v[40:41], v[18:19]
	v_mov_b64_e32 v[42:43], v[16:17]
	v_mov_b64_e32 v[44:45], v[14:15]
	s_mov_b64 s[78:79], s[18:19]
	s_branch .LBB4_29
.LBB4_28:                               ;   in Loop: Header=BB4_29 Depth=2
	s_or_b64 exec, exec, s[6:7]
	s_add_u32 s78, s78, -1
	s_addc_u32 s79, s79, -1
	v_lshl_add_u64 v[44:45], v[44:45], 0, s[34:35]
	v_lshl_add_u64 v[42:43], v[42:43], 0, s[34:35]
	;; [unrolled: 1-line block ×4, first 2 shown]
	s_cmp_eq_u64 s[78:79], -1
	v_lshl_add_u64 v[36:37], v[36:37], 0, s[14:15]
	s_cbranch_scc1 .LBB4_17
.LBB4_29:                               ;   Parent Loop BB4_18 Depth=1
                                        ; =>  This Inner Loop Header: Depth=2
	v_cmp_ge_i64_e64 s[6:7], s[78:79], v[10:11]
	s_or_b64 s[6:7], s[76:77], s[6:7]
	s_mov_b64 s[80:81], 0
	s_barrier
	s_and_saveexec_b64 s[8:9], s[6:7]
	s_xor_b64 s[8:9], exec, s[8:9]
; %bb.30:                               ;   in Loop: Header=BB4_29 Depth=2
	v_cmp_lt_i64_e64 s[6:7], s[78:79], v[2:3]
	s_and_b64 s[6:7], s[6:7], s[74:75]
	s_nor_b64 s[6:7], vcc, s[6:7]
	s_and_b64 s[80:81], s[6:7], exec
; %bb.31:                               ;   in Loop: Header=BB4_29 Depth=2
	s_or_saveexec_b64 s[82:83], s[8:9]
	v_mov_b32_e32 v46, 0
	v_mov_b32_e32 v47, 0xfff00000
	s_xor_b64 exec, exec, s[82:83]
	s_cbranch_execz .LBB4_41
; %bb.32:                               ;   in Loop: Header=BB4_29 Depth=2
	v_lshl_add_u64 v[46:47], v[40:41], 0, v[12:13]
	global_load_dwordx2 v[52:53], v[46:47], off
	v_mov_b32_e32 v48, 0
	v_mov_b32_e32 v50, 0
	;; [unrolled: 1-line block ×4, first 2 shown]
	s_waitcnt vmcnt(0)
	v_mov_b64_e32 v[46:47], v[52:53]
	s_and_saveexec_b64 s[8:9], s[4:5]
	s_cbranch_execz .LBB4_36
; %bb.33:                               ;   in Loop: Header=BB4_29 Depth=2
	v_lshl_add_u64 v[46:47], v[42:43], 0, v[12:13]
	global_load_dwordx2 v[50:51], v[46:47], off
	v_mov_b64_e32 v[46:47], v[52:53]
	s_waitcnt vmcnt(0)
	v_cmp_gt_f64_e64 s[6:7], v[50:51], v[52:53]
	s_and_saveexec_b64 s[84:85], s[6:7]
; %bb.34:                               ;   in Loop: Header=BB4_29 Depth=2
	v_mov_b64_e32 v[46:47], v[50:51]
; %bb.35:                               ;   in Loop: Header=BB4_29 Depth=2
	s_or_b64 exec, exec, s[84:85]
.LBB4_36:                               ;   in Loop: Header=BB4_29 Depth=2
	s_or_b64 exec, exec, s[8:9]
	s_and_saveexec_b64 s[8:9], s[72:73]
	s_cbranch_execz .LBB4_40
; %bb.37:                               ;   in Loop: Header=BB4_29 Depth=2
	v_lshl_add_u64 v[48:49], v[38:39], 0, v[12:13]
	global_load_dwordx2 v[48:49], v[48:49], off
	s_waitcnt vmcnt(0)
	v_cmp_gt_f64_e64 s[6:7], v[48:49], v[46:47]
	s_and_saveexec_b64 s[84:85], s[6:7]
; %bb.38:                               ;   in Loop: Header=BB4_29 Depth=2
	v_mov_b64_e32 v[46:47], v[48:49]
; %bb.39:                               ;   in Loop: Header=BB4_29 Depth=2
	s_or_b64 exec, exec, s[84:85]
.LBB4_40:                               ;   in Loop: Header=BB4_29 Depth=2
	s_or_b64 exec, exec, s[8:9]
	v_cmp_neq_f64_e64 s[6:7], s[24:25], v[46:47]
	v_mov_b64_e32 v[60:61], s[40:41]
	s_mov_b32 s68, s36
	v_cndmask_b32_e64 v47, 0, v47, s[6:7]
	v_cndmask_b32_e64 v46, 0, v46, s[6:7]
	v_add_f64 v[52:53], v[52:53], -v[46:47]
	v_mul_f64 v[56:57], v[52:53], s[26:27]
	v_rndne_f64_e32 v[56:57], v[56:57]
	v_fma_f64 v[58:59], s[36:37], v[56:57], v[52:53]
	v_fmac_f64_e32 v[58:59], s[38:39], v[56:57]
	v_fma_f64 v[62:63], s[42:43], v[58:59], v[60:61]
	v_fma_f64 v[62:63], v[58:59], v[62:63], s[44:45]
	;; [unrolled: 1-line block ×9, first 2 shown]
	v_fma_f64 v[62:63], v[58:59], v[62:63], 1.0
	v_fma_f64 v[58:59], v[58:59], v[62:63], 1.0
	v_cvt_i32_f64_e32 v56, v[56:57]
	v_ldexp_f64 v[56:57], v[58:59], v56
	v_cmp_nlt_f64_e64 s[6:7], s[60:61], v[52:53]
	v_cmp_ngt_f64_e64 s[8:9], s[62:63], v[52:53]
	v_add_f64 v[50:51], v[50:51], -v[46:47]
	v_cndmask_b32_e64 v57, v54, v57, s[6:7]
	s_and_b64 s[6:7], s[8:9], s[6:7]
	v_cndmask_b32_e64 v53, 0, v57, s[8:9]
	v_cndmask_b32_e64 v52, 0, v56, s[6:7]
	v_mul_f64 v[56:57], v[50:51], s[26:27]
	v_rndne_f64_e32 v[56:57], v[56:57]
	v_fma_f64 v[58:59], s[36:37], v[56:57], v[50:51]
	v_fmac_f64_e32 v[58:59], s[38:39], v[56:57]
	v_fma_f64 v[62:63], s[42:43], v[58:59], v[60:61]
	v_fma_f64 v[62:63], v[58:59], v[62:63], s[44:45]
	;; [unrolled: 1-line block ×9, first 2 shown]
	v_fma_f64 v[62:63], v[58:59], v[62:63], 1.0
	v_fma_f64 v[58:59], v[58:59], v[62:63], 1.0
	v_cvt_i32_f64_e32 v56, v[56:57]
	v_ldexp_f64 v[56:57], v[58:59], v56
	v_cmp_nlt_f64_e64 s[6:7], s[60:61], v[50:51]
	v_cmp_ngt_f64_e64 s[8:9], s[62:63], v[50:51]
	v_add_f64 v[48:49], v[48:49], -v[46:47]
	v_cndmask_b32_e64 v57, v54, v57, s[6:7]
	s_and_b64 s[6:7], s[8:9], s[6:7]
	v_cndmask_b32_e64 v51, 0, v57, s[8:9]
	v_cndmask_b32_e64 v50, 0, v56, s[6:7]
	v_add_f64 v[50:51], v[52:53], v[50:51]
	v_mul_f64 v[52:53], v[48:49], s[26:27]
	v_rndne_f64_e32 v[52:53], v[52:53]
	v_fma_f64 v[56:57], s[36:37], v[52:53], v[48:49]
	v_fmac_f64_e32 v[56:57], s[38:39], v[52:53]
	v_fmac_f64_e32 v[60:61], s[42:43], v[56:57]
	v_fma_f64 v[58:59], v[56:57], v[60:61], s[44:45]
	v_fma_f64 v[58:59], v[56:57], v[58:59], s[46:47]
	;; [unrolled: 1-line block ×8, first 2 shown]
	v_fma_f64 v[58:59], v[56:57], v[58:59], 1.0
	v_fma_f64 v[56:57], v[56:57], v[58:59], 1.0
	v_cvt_i32_f64_e32 v52, v[52:53]
	v_ldexp_f64 v[52:53], v[56:57], v52
	v_cmp_nlt_f64_e64 s[6:7], s[60:61], v[48:49]
	v_cmp_ngt_f64_e64 s[8:9], s[62:63], v[48:49]
	s_mov_b32 s70, s38
	v_cndmask_b32_e64 v53, v54, v53, s[6:7]
	s_and_b64 s[6:7], s[8:9], s[6:7]
	v_cndmask_b32_e64 v49, 0, v53, s[8:9]
	v_cndmask_b32_e64 v48, 0, v52, s[6:7]
	v_add_f64 v[48:49], v[48:49], v[50:51]
	v_frexp_mant_f64_e32 v[50:51], v[48:49]
	v_cmp_gt_f64_e64 s[6:7], s[64:65], v[50:51]
	v_frexp_exp_i32_f64_e32 v52, v[48:49]
	s_or_b64 s[80:81], s[80:81], exec
	v_cndmask_b32_e64 v53, 0, 1, s[6:7]
	v_ldexp_f64 v[50:51], v[50:51], v53
	v_subbrev_co_u32_e64 v68, s[6:7], 0, v52, s[6:7]
	v_add_f64 v[52:53], v[50:51], 1.0
	v_rcp_f64_e32 v[56:57], v[52:53]
	v_add_f64 v[60:61], v[52:53], -1.0
	v_add_f64 v[58:59], v[50:51], -1.0
	v_add_f64 v[50:51], v[50:51], -v[60:61]
	v_fma_f64 v[60:61], -v[52:53], v[56:57], 1.0
	v_fmac_f64_e32 v[56:57], v[60:61], v[56:57]
	global_load_dwordx2 v[60:61], v[36:37], off
	v_fma_f64 v[62:63], -v[52:53], v[56:57], 1.0
	v_fmac_f64_e32 v[56:57], v[62:63], v[56:57]
	v_mul_f64 v[62:63], v[58:59], v[56:57]
	v_mul_f64 v[64:65], v[52:53], v[62:63]
	v_fma_f64 v[52:53], v[62:63], v[52:53], -v[64:65]
	v_fmac_f64_e32 v[52:53], v[62:63], v[50:51]
	v_add_f64 v[50:51], v[64:65], v[52:53]
	v_add_f64 v[66:67], v[58:59], -v[50:51]
	v_add_f64 v[64:65], v[50:51], -v[64:65]
	v_add_f64 v[58:59], v[58:59], -v[66:67]
	v_add_f64 v[50:51], v[58:59], -v[50:51]
	v_add_f64 v[52:53], v[64:65], -v[52:53]
	v_add_f64 v[50:51], v[52:53], v[50:51]
	v_add_f64 v[50:51], v[66:67], v[50:51]
	v_mul_f64 v[50:51], v[56:57], v[50:51]
	v_add_f64 v[52:53], v[62:63], v[50:51]
	v_add_f64 v[56:57], v[52:53], -v[62:63]
	v_add_f64 v[50:51], v[50:51], -v[56:57]
	v_mul_f64 v[56:57], v[52:53], v[52:53]
	v_mov_b64_e32 v[58:59], v[24:25]
	v_fmac_f64_e32 v[58:59], s[66:67], v[56:57]
	v_mov_b64_e32 v[62:63], v[26:27]
	v_fmac_f64_e32 v[62:63], v[56:57], v[58:59]
	;; [unrolled: 2-line block ×6, first 2 shown]
	v_ldexp_f64 v[58:59], v[52:53], 1
	v_mul_f64 v[52:53], v[52:53], v[56:57]
	v_mul_f64 v[52:53], v[52:53], v[62:63]
	v_add_f64 v[56:57], v[58:59], v[52:53]
	v_add_f64 v[58:59], v[56:57], -v[58:59]
	v_ldexp_f64 v[50:51], v[50:51], 1
	v_add_f64 v[52:53], v[52:53], -v[58:59]
	v_add_f64 v[50:51], v[50:51], v[52:53]
	v_add_f64 v[52:53], v[56:57], v[50:51]
	v_add_f64 v[56:57], v[52:53], -v[56:57]
	v_add_f64 v[50:51], v[50:51], -v[56:57]
	v_cvt_f64_i32_e32 v[56:57], v68
	v_mul_f64 v[58:59], v[56:57], s[68:69]
	v_fma_f64 v[62:63], v[56:57], s[68:69], -v[58:59]
	v_fmac_f64_e32 v[62:63], s[70:71], v[56:57]
	v_add_f64 v[56:57], v[58:59], v[62:63]
	v_add_f64 v[58:59], v[56:57], -v[58:59]
	v_add_f64 v[58:59], v[62:63], -v[58:59]
	v_add_f64 v[62:63], v[56:57], v[52:53]
	v_add_f64 v[64:65], v[62:63], -v[56:57]
	v_add_f64 v[66:67], v[62:63], -v[64:65]
	;; [unrolled: 1-line block ×4, first 2 shown]
	v_add_f64 v[52:53], v[52:53], v[56:57]
	v_add_f64 v[56:57], v[58:59], v[50:51]
	v_add_f64 v[64:65], v[56:57], -v[58:59]
	v_add_f64 v[66:67], v[56:57], -v[64:65]
	v_add_f64 v[52:53], v[56:57], v[52:53]
	v_add_f64 v[58:59], v[58:59], -v[66:67]
	v_add_f64 v[50:51], v[50:51], -v[64:65]
	v_add_f64 v[56:57], v[62:63], v[52:53]
	v_add_f64 v[50:51], v[50:51], v[58:59]
	v_add_f64 v[58:59], v[56:57], -v[62:63]
	v_add_f64 v[52:53], v[52:53], -v[58:59]
	v_add_f64 v[50:51], v[50:51], v[52:53]
	v_add_f64 v[50:51], v[56:57], v[50:51]
	v_cmp_class_f64_e64 s[6:7], v[48:49], s86
	v_mov_b32_e32 v52, 0x7ff80000
	s_nop 0
	v_cndmask_b32_e64 v50, v50, v48, s[6:7]
	v_cndmask_b32_e64 v51, v51, v49, s[6:7]
	v_cmp_ngt_f64_e64 s[6:7], 0, v[48:49]
	s_nop 1
	v_cndmask_b32_e64 v51, v52, v51, s[6:7]
	v_cmp_nge_f64_e64 s[6:7], 0, v[48:49]
	s_nop 1
	v_cndmask_b32_e64 v50, 0, v50, s[6:7]
	v_cmp_neq_f64_e64 s[6:7], 0, v[48:49]
	s_nop 1
	v_cndmask_b32_e64 v51, v55, v51, s[6:7]
	v_add_f64 v[46:47], v[46:47], v[50:51]
	s_waitcnt vmcnt(0)
	v_add_f64 v[46:47], v[60:61], v[46:47]
.LBB4_41:                               ;   in Loop: Header=BB4_29 Depth=2
	s_or_b64 exec, exec, s[82:83]
	s_and_saveexec_b64 s[6:7], s[80:81]
	s_cbranch_execz .LBB4_28
; %bb.42:                               ;   in Loop: Header=BB4_29 Depth=2
	v_lshl_add_u64 v[48:49], v[44:45], 0, v[12:13]
	global_store_dwordx2 v[48:49], v[46:47], off
	s_branch .LBB4_28
.LBB4_43:
	s_endpgm
.LBB4_44:
                                        ; implicit-def: $sgpr36_sgpr37
	s_branch .LBB4_4
	.section	.rodata,"a",@progbits
	.p2align	6, 0x0
	.amdhsa_kernel _ZN2at6native12_GLOBAL__N_137ctc_loss_backward_log_beta_gpu_kernelIdlEEvPT_PKS3_PKllPKT0_S8_lllllllS8_lll
		.amdhsa_group_segment_fixed_size 0
		.amdhsa_private_segment_fixed_size 0
		.amdhsa_kernarg_size 392
		.amdhsa_user_sgpr_count 2
		.amdhsa_user_sgpr_dispatch_ptr 0
		.amdhsa_user_sgpr_queue_ptr 0
		.amdhsa_user_sgpr_kernarg_segment_ptr 1
		.amdhsa_user_sgpr_dispatch_id 0
		.amdhsa_user_sgpr_kernarg_preload_length 0
		.amdhsa_user_sgpr_kernarg_preload_offset 0
		.amdhsa_user_sgpr_private_segment_size 0
		.amdhsa_uses_dynamic_stack 0
		.amdhsa_enable_private_segment 0
		.amdhsa_system_sgpr_workgroup_id_x 1
		.amdhsa_system_sgpr_workgroup_id_y 1
		.amdhsa_system_sgpr_workgroup_id_z 0
		.amdhsa_system_sgpr_workgroup_info 0
		.amdhsa_system_vgpr_workitem_id 1
		.amdhsa_next_free_vgpr 69
		.amdhsa_next_free_sgpr 87
		.amdhsa_accum_offset 72
		.amdhsa_reserve_vcc 1
		.amdhsa_float_round_mode_32 0
		.amdhsa_float_round_mode_16_64 0
		.amdhsa_float_denorm_mode_32 3
		.amdhsa_float_denorm_mode_16_64 3
		.amdhsa_dx10_clamp 1
		.amdhsa_ieee_mode 1
		.amdhsa_fp16_overflow 0
		.amdhsa_tg_split 0
		.amdhsa_exception_fp_ieee_invalid_op 0
		.amdhsa_exception_fp_denorm_src 0
		.amdhsa_exception_fp_ieee_div_zero 0
		.amdhsa_exception_fp_ieee_overflow 0
		.amdhsa_exception_fp_ieee_underflow 0
		.amdhsa_exception_fp_ieee_inexact 0
		.amdhsa_exception_int_div_zero 0
	.end_amdhsa_kernel
	.section	.text._ZN2at6native12_GLOBAL__N_137ctc_loss_backward_log_beta_gpu_kernelIdlEEvPT_PKS3_PKllPKT0_S8_lllllllS8_lll,"axG",@progbits,_ZN2at6native12_GLOBAL__N_137ctc_loss_backward_log_beta_gpu_kernelIdlEEvPT_PKS3_PKllPKT0_S8_lllllllS8_lll,comdat
.Lfunc_end4:
	.size	_ZN2at6native12_GLOBAL__N_137ctc_loss_backward_log_beta_gpu_kernelIdlEEvPT_PKS3_PKllPKT0_S8_lllllllS8_lll, .Lfunc_end4-_ZN2at6native12_GLOBAL__N_137ctc_loss_backward_log_beta_gpu_kernelIdlEEvPT_PKS3_PKllPKT0_S8_lllllllS8_lll
                                        ; -- End function
	.set _ZN2at6native12_GLOBAL__N_137ctc_loss_backward_log_beta_gpu_kernelIdlEEvPT_PKS3_PKllPKT0_S8_lllllllS8_lll.num_vgpr, 69
	.set _ZN2at6native12_GLOBAL__N_137ctc_loss_backward_log_beta_gpu_kernelIdlEEvPT_PKS3_PKllPKT0_S8_lllllllS8_lll.num_agpr, 0
	.set _ZN2at6native12_GLOBAL__N_137ctc_loss_backward_log_beta_gpu_kernelIdlEEvPT_PKS3_PKllPKT0_S8_lllllllS8_lll.numbered_sgpr, 87
	.set _ZN2at6native12_GLOBAL__N_137ctc_loss_backward_log_beta_gpu_kernelIdlEEvPT_PKS3_PKllPKT0_S8_lllllllS8_lll.num_named_barrier, 0
	.set _ZN2at6native12_GLOBAL__N_137ctc_loss_backward_log_beta_gpu_kernelIdlEEvPT_PKS3_PKllPKT0_S8_lllllllS8_lll.private_seg_size, 0
	.set _ZN2at6native12_GLOBAL__N_137ctc_loss_backward_log_beta_gpu_kernelIdlEEvPT_PKS3_PKllPKT0_S8_lllllllS8_lll.uses_vcc, 1
	.set _ZN2at6native12_GLOBAL__N_137ctc_loss_backward_log_beta_gpu_kernelIdlEEvPT_PKS3_PKllPKT0_S8_lllllllS8_lll.uses_flat_scratch, 0
	.set _ZN2at6native12_GLOBAL__N_137ctc_loss_backward_log_beta_gpu_kernelIdlEEvPT_PKS3_PKllPKT0_S8_lllllllS8_lll.has_dyn_sized_stack, 0
	.set _ZN2at6native12_GLOBAL__N_137ctc_loss_backward_log_beta_gpu_kernelIdlEEvPT_PKS3_PKllPKT0_S8_lllllllS8_lll.has_recursion, 0
	.set _ZN2at6native12_GLOBAL__N_137ctc_loss_backward_log_beta_gpu_kernelIdlEEvPT_PKS3_PKllPKT0_S8_lllllllS8_lll.has_indirect_call, 0
	.section	.AMDGPU.csdata,"",@progbits
; Kernel info:
; codeLenInByte = 4240
; TotalNumSgprs: 93
; NumVgprs: 69
; NumAgprs: 0
; TotalNumVgprs: 69
; ScratchSize: 0
; MemoryBound: 0
; FloatMode: 240
; IeeeMode: 1
; LDSByteSize: 0 bytes/workgroup (compile time only)
; SGPRBlocks: 11
; VGPRBlocks: 8
; NumSGPRsForWavesPerEU: 93
; NumVGPRsForWavesPerEU: 69
; AccumOffset: 72
; Occupancy: 7
; WaveLimiterHint : 1
; COMPUTE_PGM_RSRC2:SCRATCH_EN: 0
; COMPUTE_PGM_RSRC2:USER_SGPR: 2
; COMPUTE_PGM_RSRC2:TRAP_HANDLER: 0
; COMPUTE_PGM_RSRC2:TGID_X_EN: 1
; COMPUTE_PGM_RSRC2:TGID_Y_EN: 1
; COMPUTE_PGM_RSRC2:TGID_Z_EN: 0
; COMPUTE_PGM_RSRC2:TIDIG_COMP_CNT: 1
; COMPUTE_PGM_RSRC3_GFX90A:ACCUM_OFFSET: 17
; COMPUTE_PGM_RSRC3_GFX90A:TG_SPLIT: 0
	.section	.text._ZN2at6native12_GLOBAL__N_145ctc_loss_backward_collect_nonblank_gpu_kernelIdlEEvPT_PKS3_lS6_S6_S6_PKlPKT0_S8_S6_llllllllllllS8_llb,"axG",@progbits,_ZN2at6native12_GLOBAL__N_145ctc_loss_backward_collect_nonblank_gpu_kernelIdlEEvPT_PKS3_lS6_S6_S6_PKlPKT0_S8_S6_llllllllllllS8_llb,comdat
	.globl	_ZN2at6native12_GLOBAL__N_145ctc_loss_backward_collect_nonblank_gpu_kernelIdlEEvPT_PKS3_lS6_S6_S6_PKlPKT0_S8_S6_llllllllllllS8_llb ; -- Begin function _ZN2at6native12_GLOBAL__N_145ctc_loss_backward_collect_nonblank_gpu_kernelIdlEEvPT_PKS3_lS6_S6_S6_PKlPKT0_S8_S6_llllllllllllS8_llb
	.p2align	8
	.type	_ZN2at6native12_GLOBAL__N_145ctc_loss_backward_collect_nonblank_gpu_kernelIdlEEvPT_PKS3_lS6_S6_S6_PKlPKT0_S8_S6_llllllllllllS8_llb,@function
_ZN2at6native12_GLOBAL__N_145ctc_loss_backward_collect_nonblank_gpu_kernelIdlEEvPT_PKS3_lS6_S6_S6_PKlPKT0_S8_S6_llllllllllllS8_llb: ; @_ZN2at6native12_GLOBAL__N_145ctc_loss_backward_collect_nonblank_gpu_kernelIdlEEvPT_PKS3_lS6_S6_S6_PKlPKT0_S8_S6_llllllllllllS8_llb
; %bb.0:
	s_load_dword s4, s[0:1], 0xdc
	s_load_dwordx4 s[44:47], s[0:1], 0xb8
	v_bfe_u32 v1, v0, 10, 10
	v_mov_b32_e32 v5, 0
	s_waitcnt lgkmcnt(0)
	s_lshr_b32 s5, s4, 16
	s_mul_i32 s3, s3, s5
	v_add_u32_e32 v4, s3, v1
	v_cmp_gt_i64_e32 vcc, s[46:47], v[4:5]
	s_and_saveexec_b64 s[6:7], vcc
	s_cbranch_execz .LBB5_5
; %bb.1:
	s_load_dwordx2 s[6:7], s[0:1], 0x40
	v_and_b32_e32 v0, 0x3ff, v0
	v_mov_b32_e32 v1, v5
	s_and_b32 s3, s4, 0xffff
	v_mov_b32_e32 v6, s2
	s_waitcnt lgkmcnt(0)
	v_lshl_add_u64 v[2:3], v[4:5], 3, s[6:7]
	global_load_dwordx2 v[2:3], v[2:3], off
	v_mad_u64_u32 v[6:7], s[2:3], s3, v6, v[0:1]
	s_waitcnt vmcnt(0)
	v_cmp_lt_i64_e32 vcc, v[6:7], v[2:3]
	s_and_b64 exec, exec, vcc
	s_cbranch_execz .LBB5_5
; %bb.2:
	s_load_dwordx2 s[2:3], s[0:1], 0x48
	s_load_dword s6, s[0:1], 0xc8
	s_load_dwordx2 s[4:5], s[0:1], 0x30
	v_lshlrev_b64 v[2:3], 3, v[4:5]
	s_waitcnt lgkmcnt(0)
	v_lshl_add_u64 v[0:1], s[2:3], 0, v[2:3]
	global_load_dwordx2 v[0:1], v[0:1], off
	v_lshl_add_u64 v[2:3], s[4:5], 0, v[2:3]
	global_load_dwordx2 v[2:3], v[2:3], off
	s_mov_b32 s4, 0
	s_bitcmp1_b32 s6, 0
	s_mov_b32 s5, 0x7ff00000
	s_cselect_b64 s[6:7], -1, 0
	s_xor_b64 s[6:7], s[6:7], -1
	s_mov_b64 s[2:3], 0
	s_waitcnt vmcnt(1)
	v_cmp_neq_f64_e32 vcc, s[4:5], v[0:1]
	s_or_b64 s[4:5], s[6:7], vcc
	s_waitcnt vmcnt(0)
	v_cmp_lt_i64_e32 vcc, 0, v[2:3]
	s_and_b64 s[4:5], s[4:5], vcc
	s_and_b64 exec, exec, s[4:5]
	s_cbranch_execz .LBB5_5
; %bb.3:
	s_load_dwordx2 s[4:5], s[0:1], 0xb0
	v_mul_lo_u32 v12, v6, s45
	v_lshlrev_b64 v[26:27], 1, v[6:7]
	s_mov_b32 s34, 0x652b82fe
	s_mov_b32 s46, 0x3b39803f
	s_waitcnt lgkmcnt(0)
	v_lshl_add_u64 v[8:9], v[4:5], 3, s[4:5]
	global_load_dwordx2 v[8:9], v[8:9], off
	s_load_dwordx8 s[20:27], s[0:1], 0x0
	s_load_dwordx4 s[28:31], s[0:1], 0x20
	s_load_dwordx2 s[48:49], s[0:1], 0x38
	s_load_dwordx16 s[4:19], s[0:1], 0x50
	s_load_dwordx8 s[36:43], s[0:1], 0x90
	v_mul_lo_u32 v5, v7, s44
	v_mad_u64_u32 v[10:11], s[0:1], v6, s44, 0
	v_add3_u32 v11, v11, v12, v5
	v_or_b32_e32 v5, 1, v26
	s_waitcnt lgkmcnt(0)
	v_mad_u64_u32 v[30:31], s[0:1], s6, v4, 0
	v_mad_u64_u32 v[34:35], s[0:1], s12, v4, 0
	;; [unrolled: 1-line block ×4, first 2 shown]
	v_mul_lo_u32 v33, v27, s36
	v_mul_lo_u32 v43, v5, s37
	v_mad_u64_u32 v[40:41], s[0:1], v5, s36, 0
	v_mul_lo_u32 v45, v27, s42
	v_mul_lo_u32 v47, v5, s43
	v_mad_u64_u32 v[26:27], s[0:1], v5, s42, 0
	v_mov_b32_e32 v42, v31
	v_mov_b32_e32 v44, v35
	;; [unrolled: 1-line block ×4, first 2 shown]
	v_add3_u32 v41, v41, v43, v33
	v_add3_u32 v27, v27, v47, v45
	v_mad_u64_u32 v[42:43], s[0:1], s7, v4, v[42:43]
	v_mad_u64_u32 v[44:45], s[0:1], s13, v4, v[44:45]
	;; [unrolled: 1-line block ×3, first 2 shown]
	v_mov_b32_e32 v37, v46
	v_mov_b32_e32 v31, v42
	;; [unrolled: 1-line block ×3, first 2 shown]
	s_mov_b32 s44, 0xfefa39ef
	v_lshl_add_u64 v[34:35], v[34:35], 3, s[30:31]
	v_lshl_add_u64 v[30:31], v[30:31], 3, s[20:21]
	s_mov_b32 s35, 0x3ff71547
	s_mov_b32 s45, 0xbfe62e42
	;; [unrolled: 1-line block ×3, first 2 shown]
	v_mov_b32_e32 v12, 0x7c89e6b0
	v_mov_b32_e32 v13, 0x3efa0199
	;; [unrolled: 1-line block ×15, first 2 shown]
	s_lshl_b64 s[36:37], s[40:41], 3
	s_lshl_b64 s[18:19], s[18:19], 3
	;; [unrolled: 1-line block ×4, first 2 shown]
	s_waitcnt vmcnt(0)
	v_lshl_add_u64 v[6:7], v[8:9], 3, s[48:49]
	v_mad_u64_u32 v[8:9], s[0:1], s24, v4, 0
	v_lshl_add_u64 v[6:7], v[10:11], 3, v[6:7]
	v_mov_b32_e32 v10, v9
	global_load_dwordx2 v[28:29], v[6:7], off
	v_mad_u64_u32 v[10:11], s[0:1], s25, v4, v[10:11]
	v_mov_b32_e32 v9, v10
	v_lshl_add_u64 v[8:9], v[8:9], 3, s[22:23]
	global_load_dwordx2 v[8:9], v[8:9], off
	v_mad_u64_u32 v[4:5], s[0:1], s39, v4, v[48:49]
	v_mov_b32_e32 v39, v4
	v_lshl_add_u64 v[4:5], v[36:37], 3, s[26:27]
	v_lshl_add_u64 v[36:37], v[38:39], 3, s[28:29]
	v_lshl_add_u64 v[4:5], v[40:41], 3, v[4:5]
	v_lshl_add_u64 v[26:27], v[26:27], 3, v[36:37]
	s_mov_b32 s48, 0x6a5dcb37
	s_mov_b32 s22, 0
	;; [unrolled: 1-line block ×3, first 2 shown]
	v_mov_b32_e32 v6, 0xfca7ab0c
	v_mov_b32_e32 v7, 0x3e928af3
	s_mov_b32 s49, 0x3e5ade15
	v_mov_b32_e32 v10, 0x623fde64
	v_mov_b32_e32 v11, 0x3ec71dee
	s_mov_b32 s23, 0x40900000
	s_mov_b32 s25, 0xc090cc00
	s_waitcnt vmcnt(1)
	v_mul_lo_u32 v33, v29, s14
	v_mul_lo_u32 v40, v28, s15
	v_mad_u64_u32 v[36:37], s[0:1], v28, s14, 0
	v_mul_lo_u32 v29, v29, s8
	v_mul_lo_u32 v41, v28, s9
	v_mad_u64_u32 v[38:39], s[0:1], v28, s8, 0
	v_add3_u32 v37, v37, v40, v33
	v_add3_u32 v39, v39, v41, v29
	v_lshl_add_u64 v[28:29], v[36:37], 3, v[34:35]
	v_lshl_add_u64 v[30:31], v[38:39], 3, v[30:31]
	v_bfrev_b32_e32 v33, 1
.LBB5_4:                                ; =>This Inner Loop Header: Depth=1
	global_load_dwordx2 v[34:35], v[4:5], off
	global_load_dwordx2 v[36:37], v[26:27], off
	;; [unrolled: 1-line block ×3, first 2 shown]
	v_lshl_add_u64 v[2:3], v[2:3], 0, -1
	v_lshl_add_u64 v[26:27], v[26:27], 0, s[36:37]
	v_lshl_add_u64 v[4:5], v[4:5], 0, s[18:19]
	;; [unrolled: 1-line block ×3, first 2 shown]
	s_waitcnt vmcnt(1)
	v_add_f64 v[34:35], v[34:35], v[36:37]
	v_add_f64 v[34:35], v[0:1], v[34:35]
	s_waitcnt vmcnt(0)
	v_add_f64 v[34:35], v[34:35], -v[38:39]
	v_mul_f64 v[36:37], v[34:35], s[34:35]
	v_rndne_f64_e32 v[36:37], v[36:37]
	v_fma_f64 v[38:39], s[44:45], v[36:37], v[34:35]
	v_fmac_f64_e32 v[38:39], s[46:47], v[36:37]
	v_cvt_i32_f64_e32 v40, v[36:37]
	v_fma_f64 v[36:37], s[48:49], v[38:39], v[6:7]
	v_fma_f64 v[36:37], v[38:39], v[36:37], v[10:11]
	;; [unrolled: 1-line block ×9, first 2 shown]
	v_fma_f64 v[36:37], v[38:39], v[36:37], 1.0
	v_fma_f64 v[36:37], v[38:39], v[36:37], 1.0
	v_ldexp_f64 v[36:37], -v[36:37], v40
	v_cmp_nlt_f64_e32 vcc, s[22:23], v[34:35]
	v_cmp_ngt_f64_e64 s[0:1], s[24:25], v[34:35]
	s_nop 0
	v_cndmask_b32_e32 v37, v32, v37, vcc
	s_and_b64 vcc, s[0:1], vcc
	v_cndmask_b32_e64 v35, v33, v37, s[0:1]
	v_cndmask_b32_e32 v34, 0, v36, vcc
	v_mul_f64 v[34:35], v[8:9], v[34:35]
	global_atomic_add_f64 v[30:31], v[34:35], off
	v_cmp_eq_u64_e32 vcc, 0, v[2:3]
	s_or_b64 s[2:3], vcc, s[2:3]
	v_lshl_add_u64 v[30:31], v[30:31], 0, s[4:5]
	s_andn2_b64 exec, exec, s[2:3]
	s_cbranch_execnz .LBB5_4
.LBB5_5:
	s_endpgm
	.section	.rodata,"a",@progbits
	.p2align	6, 0x0
	.amdhsa_kernel _ZN2at6native12_GLOBAL__N_145ctc_loss_backward_collect_nonblank_gpu_kernelIdlEEvPT_PKS3_lS6_S6_S6_PKlPKT0_S8_S6_llllllllllllS8_llb
		.amdhsa_group_segment_fixed_size 0
		.amdhsa_private_segment_fixed_size 0
		.amdhsa_kernarg_size 464
		.amdhsa_user_sgpr_count 2
		.amdhsa_user_sgpr_dispatch_ptr 0
		.amdhsa_user_sgpr_queue_ptr 0
		.amdhsa_user_sgpr_kernarg_segment_ptr 1
		.amdhsa_user_sgpr_dispatch_id 0
		.amdhsa_user_sgpr_kernarg_preload_length 0
		.amdhsa_user_sgpr_kernarg_preload_offset 0
		.amdhsa_user_sgpr_private_segment_size 0
		.amdhsa_uses_dynamic_stack 0
		.amdhsa_enable_private_segment 0
		.amdhsa_system_sgpr_workgroup_id_x 1
		.amdhsa_system_sgpr_workgroup_id_y 1
		.amdhsa_system_sgpr_workgroup_id_z 0
		.amdhsa_system_sgpr_workgroup_info 0
		.amdhsa_system_vgpr_workitem_id 1
		.amdhsa_next_free_vgpr 50
		.amdhsa_next_free_sgpr 50
		.amdhsa_accum_offset 52
		.amdhsa_reserve_vcc 1
		.amdhsa_float_round_mode_32 0
		.amdhsa_float_round_mode_16_64 0
		.amdhsa_float_denorm_mode_32 3
		.amdhsa_float_denorm_mode_16_64 3
		.amdhsa_dx10_clamp 1
		.amdhsa_ieee_mode 1
		.amdhsa_fp16_overflow 0
		.amdhsa_tg_split 0
		.amdhsa_exception_fp_ieee_invalid_op 0
		.amdhsa_exception_fp_denorm_src 0
		.amdhsa_exception_fp_ieee_div_zero 0
		.amdhsa_exception_fp_ieee_overflow 0
		.amdhsa_exception_fp_ieee_underflow 0
		.amdhsa_exception_fp_ieee_inexact 0
		.amdhsa_exception_int_div_zero 0
	.end_amdhsa_kernel
	.section	.text._ZN2at6native12_GLOBAL__N_145ctc_loss_backward_collect_nonblank_gpu_kernelIdlEEvPT_PKS3_lS6_S6_S6_PKlPKT0_S8_S6_llllllllllllS8_llb,"axG",@progbits,_ZN2at6native12_GLOBAL__N_145ctc_loss_backward_collect_nonblank_gpu_kernelIdlEEvPT_PKS3_lS6_S6_S6_PKlPKT0_S8_S6_llllllllllllS8_llb,comdat
.Lfunc_end5:
	.size	_ZN2at6native12_GLOBAL__N_145ctc_loss_backward_collect_nonblank_gpu_kernelIdlEEvPT_PKS3_lS6_S6_S6_PKlPKT0_S8_S6_llllllllllllS8_llb, .Lfunc_end5-_ZN2at6native12_GLOBAL__N_145ctc_loss_backward_collect_nonblank_gpu_kernelIdlEEvPT_PKS3_lS6_S6_S6_PKlPKT0_S8_S6_llllllllllllS8_llb
                                        ; -- End function
	.set _ZN2at6native12_GLOBAL__N_145ctc_loss_backward_collect_nonblank_gpu_kernelIdlEEvPT_PKS3_lS6_S6_S6_PKlPKT0_S8_S6_llllllllllllS8_llb.num_vgpr, 50
	.set _ZN2at6native12_GLOBAL__N_145ctc_loss_backward_collect_nonblank_gpu_kernelIdlEEvPT_PKS3_lS6_S6_S6_PKlPKT0_S8_S6_llllllllllllS8_llb.num_agpr, 0
	.set _ZN2at6native12_GLOBAL__N_145ctc_loss_backward_collect_nonblank_gpu_kernelIdlEEvPT_PKS3_lS6_S6_S6_PKlPKT0_S8_S6_llllllllllllS8_llb.numbered_sgpr, 50
	.set _ZN2at6native12_GLOBAL__N_145ctc_loss_backward_collect_nonblank_gpu_kernelIdlEEvPT_PKS3_lS6_S6_S6_PKlPKT0_S8_S6_llllllllllllS8_llb.num_named_barrier, 0
	.set _ZN2at6native12_GLOBAL__N_145ctc_loss_backward_collect_nonblank_gpu_kernelIdlEEvPT_PKS3_lS6_S6_S6_PKlPKT0_S8_S6_llllllllllllS8_llb.private_seg_size, 0
	.set _ZN2at6native12_GLOBAL__N_145ctc_loss_backward_collect_nonblank_gpu_kernelIdlEEvPT_PKS3_lS6_S6_S6_PKlPKT0_S8_S6_llllllllllllS8_llb.uses_vcc, 1
	.set _ZN2at6native12_GLOBAL__N_145ctc_loss_backward_collect_nonblank_gpu_kernelIdlEEvPT_PKS3_lS6_S6_S6_PKlPKT0_S8_S6_llllllllllllS8_llb.uses_flat_scratch, 0
	.set _ZN2at6native12_GLOBAL__N_145ctc_loss_backward_collect_nonblank_gpu_kernelIdlEEvPT_PKS3_lS6_S6_S6_PKlPKT0_S8_S6_llllllllllllS8_llb.has_dyn_sized_stack, 0
	.set _ZN2at6native12_GLOBAL__N_145ctc_loss_backward_collect_nonblank_gpu_kernelIdlEEvPT_PKS3_lS6_S6_S6_PKlPKT0_S8_S6_llllllllllllS8_llb.has_recursion, 0
	.set _ZN2at6native12_GLOBAL__N_145ctc_loss_backward_collect_nonblank_gpu_kernelIdlEEvPT_PKS3_lS6_S6_S6_PKlPKT0_S8_S6_llllllllllllS8_llb.has_indirect_call, 0
	.section	.AMDGPU.csdata,"",@progbits
; Kernel info:
; codeLenInByte = 1284
; TotalNumSgprs: 56
; NumVgprs: 50
; NumAgprs: 0
; TotalNumVgprs: 50
; ScratchSize: 0
; MemoryBound: 0
; FloatMode: 240
; IeeeMode: 1
; LDSByteSize: 0 bytes/workgroup (compile time only)
; SGPRBlocks: 6
; VGPRBlocks: 6
; NumSGPRsForWavesPerEU: 56
; NumVGPRsForWavesPerEU: 50
; AccumOffset: 52
; Occupancy: 8
; WaveLimiterHint : 1
; COMPUTE_PGM_RSRC2:SCRATCH_EN: 0
; COMPUTE_PGM_RSRC2:USER_SGPR: 2
; COMPUTE_PGM_RSRC2:TRAP_HANDLER: 0
; COMPUTE_PGM_RSRC2:TGID_X_EN: 1
; COMPUTE_PGM_RSRC2:TGID_Y_EN: 1
; COMPUTE_PGM_RSRC2:TGID_Z_EN: 0
; COMPUTE_PGM_RSRC2:TIDIG_COMP_CNT: 1
; COMPUTE_PGM_RSRC3_GFX90A:ACCUM_OFFSET: 12
; COMPUTE_PGM_RSRC3_GFX90A:TG_SPLIT: 0
	.section	.text._ZN2at6native12_GLOBAL__N_136ctc_loss_backward_collect_gpu_kernelIdlEEvPT_PKS3_lS6_S6_S6_PKllPKT0_S8_lS6_llllllllllllS8_llllb,"axG",@progbits,_ZN2at6native12_GLOBAL__N_136ctc_loss_backward_collect_gpu_kernelIdlEEvPT_PKS3_lS6_S6_S6_PKllPKT0_S8_lS6_llllllllllllS8_llllb,comdat
	.globl	_ZN2at6native12_GLOBAL__N_136ctc_loss_backward_collect_gpu_kernelIdlEEvPT_PKS3_lS6_S6_S6_PKllPKT0_S8_lS6_llllllllllllS8_llllb ; -- Begin function _ZN2at6native12_GLOBAL__N_136ctc_loss_backward_collect_gpu_kernelIdlEEvPT_PKS3_lS6_S6_S6_PKllPKT0_S8_lS6_llllllllllllS8_llllb
	.p2align	8
	.type	_ZN2at6native12_GLOBAL__N_136ctc_loss_backward_collect_gpu_kernelIdlEEvPT_PKS3_lS6_S6_S6_PKllPKT0_S8_lS6_llllllllllllS8_llllb,@function
_ZN2at6native12_GLOBAL__N_136ctc_loss_backward_collect_gpu_kernelIdlEEvPT_PKS3_lS6_S6_S6_PKllPKT0_S8_lS6_llllllllllllS8_llllb: ; @_ZN2at6native12_GLOBAL__N_136ctc_loss_backward_collect_gpu_kernelIdlEEvPT_PKS3_lS6_S6_S6_PKllPKT0_S8_lS6_llllllllllllS8_llllb
; %bb.0:
	s_load_dword s6, s[0:1], 0xfc
	s_load_dwordx2 s[4:5], s[0:1], 0x38
	s_load_dwordx8 s[20:27], s[0:1], 0xc8
	v_bfe_u32 v1, v0, 10, 10
	v_mov_b32_e32 v3, 0
	s_waitcnt lgkmcnt(0)
	s_lshr_b32 s7, s6, 16
	s_mul_i32 s3, s3, s7
	v_add_u32_e32 v2, s3, v1
	v_and_b32_e32 v0, 0x3ff, v0
	v_mov_b32_e32 v1, v3
	s_and_b32 s3, s6, 0xffff
	v_mov_b32_e32 v4, s2
	v_mad_u64_u32 v[4:5], s[2:3], s3, v4, v[0:1]
	v_cmp_gt_i64_e32 vcc, s[4:5], v[4:5]
	v_cmp_gt_i64_e64 s[2:3], s[22:23], v[2:3]
	s_and_b64 s[2:3], vcc, s[2:3]
	s_and_saveexec_b64 s[4:5], s[2:3]
	s_cbranch_execz .LBB6_15
; %bb.1:
	s_load_dwordx2 s[4:5], s[0:1], 0x30
	s_load_dwordx2 s[2:3], s[0:1], 0x50
	s_waitcnt lgkmcnt(0)
	v_lshl_add_u64 v[0:1], v[2:3], 3, s[4:5]
	global_load_dwordx2 v[6:7], v[0:1], off
	s_load_dwordx16 s[4:19], s[0:1], 0x60
	s_load_dwordx2 s[22:23], s[0:1], 0x0
	s_waitcnt lgkmcnt(0)
	v_mad_u64_u32 v[0:1], s[28:29], s6, v2, 0
	v_mov_b32_e32 v8, v1
	v_mad_u64_u32 v[8:9], s[6:7], s7, v2, v[8:9]
	v_mov_b32_e32 v1, v8
	v_cmp_lt_i64_e64 s[28:29], s[2:3], 0
	s_mov_b64 s[6:7], 0
	s_and_b64 vcc, exec, s[28:29]
	v_mul_lo_u32 v38, v5, s4
	v_mul_lo_u32 v39, v4, s5
	v_lshl_add_u64 v[0:1], v[0:1], 3, s[22:23]
	s_cbranch_vccnz .LBB6_10
; %bb.2:
	s_load_dwordx2 s[22:23], s[0:1], 0xc0
	s_load_dwordx4 s[28:31], s[0:1], 0x40
	s_load_dwordx4 s[44:47], s[0:1], 0x18
	v_lshlrev_b64 v[8:9], 3, v[2:3]
	s_load_dwordx8 s[36:43], s[0:1], 0xa0
	s_waitcnt lgkmcnt(0)
	v_lshl_add_u64 v[10:11], s[22:23], 0, v[8:9]
	v_lshl_add_u64 v[8:9], s[30:31], 0, v[8:9]
	global_load_dwordx2 v[16:17], v[8:9], off
	global_load_dwordx2 v[18:19], v[10:11], off
	s_lshl_b64 s[22:23], s[2:3], 1
	v_mad_u64_u32 v[12:13], s[2:3], s16, v2, 0
	v_mul_lo_u32 v27, v5, s18
	v_mul_lo_u32 v28, v4, s19
	v_mad_u64_u32 v[14:15], s[2:3], v4, s18, 0
	v_mad_u64_u32 v[20:21], s[2:3], s38, v2, 0
	v_mov_b32_e32 v26, v13
	v_mov_b32_e32 v8, v21
	v_add3_u32 v15, v15, v28, v27
	v_mad_u64_u32 v[26:27], s[2:3], s17, v2, v[26:27]
	v_mad_u64_u32 v[24:25], s[2:3], s39, v2, v[8:9]
	v_mov_b32_e32 v13, v26
	v_mad_u64_u32 v[10:11], s[2:3], v4, s4, 0
	v_mul_lo_u32 v29, v5, s40
	v_mul_lo_u32 v30, v4, s41
	v_mad_u64_u32 v[22:23], s[2:3], v4, s40, 0
	v_lshl_add_u64 v[12:13], v[12:13], 3, s[44:45]
	v_mov_b32_e32 v21, v24
	s_mov_b32 s30, 0
	s_mov_b32 s34, 0x652b82fe
	;; [unrolled: 1-line block ×18, first 2 shown]
	v_add3_u32 v11, v11, v39, v38
	v_lshl_add_u64 v[12:13], v[14:15], 3, v[12:13]
	v_add3_u32 v23, v23, v30, v29
	v_lshl_add_u64 v[14:15], v[20:21], 3, s[46:47]
	s_mov_b32 s19, 0
	s_mov_b32 s31, 0xfff00000
	;; [unrolled: 1-line block ×19, first 2 shown]
	s_lshl_b64 s[36:37], s[36:37], 3
	s_lshl_b64 s[38:39], s[42:43], 3
	s_mov_b32 s41, 0x3fe62e42
	s_mov_b32 s43, 0x3c7abc9e
	s_movk_i32 s5, 0x204
	v_mov_b32_e32 v40, 0x7ff00000
	v_mov_b32_e32 v8, 0x6b47b09a
	;; [unrolled: 1-line block ×3, first 2 shown]
	v_lshl_add_u64 v[10:11], v[10:11], 3, v[0:1]
	v_lshl_add_u64 v[14:15], v[22:23], 3, v[14:15]
	v_mov_b32_e32 v20, 0xd7f4df2e
	v_mov_b32_e32 v21, 0x3fc7474d
	s_waitcnt vmcnt(1)
	v_lshlrev_b64 v[16:17], 1, v[16:17]
	s_waitcnt vmcnt(0)
	v_lshl_add_u64 v[18:19], v[18:19], 3, s[28:29]
	v_mov_b32_e32 v22, 0x16291751
	v_mov_b32_e32 v23, 0x3fcc71c0
	;; [unrolled: 1-line block ×10, first 2 shown]
	s_branch .LBB6_5
.LBB6_3:                                ;   in Loop: Header=BB6_5 Depth=1
	s_or_b64 exec, exec, s[28:29]
	global_store_dwordx2 v[30:31], v[34:35], off
.LBB6_4:                                ;   in Loop: Header=BB6_5 Depth=1
	s_or_b64 exec, exec, s[16:17]
	s_add_u32 s6, s6, 1
	s_addc_u32 s7, s7, 0
	v_mov_b64_e32 v[30:31], s[6:7]
	v_cmp_lt_i64_e32 vcc, s[22:23], v[30:31]
	v_lshl_add_u64 v[12:13], v[12:13], 0, s[36:37]
	v_lshl_add_u64 v[14:15], v[14:15], 0, s[38:39]
	s_cbranch_vccnz .LBB6_10
.LBB6_5:                                ; =>This Inner Loop Header: Depth=1
	v_cmp_le_i64_e32 vcc, s[6:7], v[16:17]
	s_and_saveexec_b64 s[16:17], vcc
	s_cbranch_execz .LBB6_4
; %bb.6:                                ;   in Loop: Header=BB6_5 Depth=1
	s_and_b32 s18, s6, 1
	s_cmp_eq_u64 s[18:19], 0
	v_mov_b64_e32 v[30:31], s[26:27]
	s_cbranch_scc1 .LBB6_8
; %bb.7:                                ;   in Loop: Header=BB6_5 Depth=1
	s_lshr_b64 s[2:3], s[6:7], 1
	s_lshr_b32 s3, s7, 1
	s_mul_i32 s3, s20, s3
	s_mul_hi_u32 s18, s20, s2
	s_add_i32 s3, s18, s3
	s_mul_i32 s18, s21, s2
	s_add_i32 s3, s3, s18
	s_mul_i32 s2, s20, s2
	v_lshl_add_u64 v[30:31], s[2:3], 3, v[18:19]
	global_load_dwordx2 v[30:31], v[30:31], off
.LBB6_8:                                ;   in Loop: Header=BB6_5 Depth=1
	s_waitcnt vmcnt(0)
	v_mul_lo_u32 v36, v31, s8
	v_mul_lo_u32 v37, v30, s9
	v_mad_u64_u32 v[30:31], s[2:3], v30, s8, 0
	v_add3_u32 v31, v31, v37, v36
	v_lshl_add_u64 v[30:31], v[30:31], 3, v[10:11]
	global_load_dwordx2 v[32:33], v[12:13], off
	global_load_dwordx2 v[34:35], v[14:15], off
	;; [unrolled: 1-line block ×3, first 2 shown]
	s_waitcnt vmcnt(1)
	v_add_f64 v[34:35], v[32:33], v[34:35]
	s_waitcnt vmcnt(0)
	v_cmp_neq_f64_e32 vcc, s[30:31], v[36:37]
	s_and_saveexec_b64 s[28:29], vcc
	s_cbranch_execz .LBB6_3
; %bb.9:                                ;   in Loop: Header=BB6_5 Depth=1
	v_cmp_gt_f64_e32 vcc, v[36:37], v[34:35]
	v_mov_b64_e32 v[48:49], s[52:53]
	s_mov_b32 s40, s48
	v_cndmask_b32_e32 v33, v35, v37, vcc
	v_cndmask_b32_e32 v32, v34, v36, vcc
	v_add_f64 v[36:37], v[36:37], -v[32:33]
	v_mul_f64 v[44:45], v[36:37], s[34:35]
	v_rndne_f64_e32 v[44:45], v[44:45]
	v_fma_f64 v[46:47], s[48:49], v[44:45], v[36:37]
	v_fmac_f64_e32 v[46:47], s[50:51], v[44:45]
	v_fma_f64 v[50:51], s[54:55], v[46:47], v[48:49]
	v_fma_f64 v[50:51], v[46:47], v[50:51], s[56:57]
	v_fma_f64 v[50:51], v[46:47], v[50:51], s[58:59]
	v_fma_f64 v[50:51], v[46:47], v[50:51], s[60:61]
	v_fma_f64 v[50:51], v[46:47], v[50:51], s[62:63]
	v_fma_f64 v[50:51], v[46:47], v[50:51], s[64:65]
	v_fma_f64 v[50:51], v[46:47], v[50:51], s[66:67]
	v_fma_f64 v[50:51], v[46:47], v[50:51], s[68:69]
	v_fma_f64 v[50:51], v[46:47], v[50:51], s[70:71]
	v_fma_f64 v[50:51], v[46:47], v[50:51], 1.0
	v_fma_f64 v[46:47], v[46:47], v[50:51], 1.0
	v_cvt_i32_f64_e32 v43, v[44:45]
	v_ldexp_f64 v[44:45], v[46:47], v43
	v_cmp_nlt_f64_e32 vcc, s[72:73], v[36:37]
	v_cmp_ngt_f64_e64 s[2:3], s[74:75], v[36:37]
	v_add_f64 v[34:35], v[34:35], -v[32:33]
	v_cndmask_b32_e32 v43, v40, v45, vcc
	s_and_b64 vcc, s[2:3], vcc
	v_cndmask_b32_e32 v36, 0, v44, vcc
	v_mul_f64 v[44:45], v[34:35], s[34:35]
	v_rndne_f64_e32 v[44:45], v[44:45]
	v_fma_f64 v[46:47], s[48:49], v[44:45], v[34:35]
	v_fmac_f64_e32 v[46:47], s[50:51], v[44:45]
	v_fmac_f64_e32 v[48:49], s[54:55], v[46:47]
	v_fma_f64 v[48:49], v[46:47], v[48:49], s[56:57]
	v_fma_f64 v[48:49], v[46:47], v[48:49], s[58:59]
	;; [unrolled: 1-line block ×8, first 2 shown]
	v_fma_f64 v[48:49], v[46:47], v[48:49], 1.0
	v_cndmask_b32_e64 v37, 0, v43, s[2:3]
	v_fma_f64 v[46:47], v[46:47], v[48:49], 1.0
	v_cvt_i32_f64_e32 v43, v[44:45]
	v_ldexp_f64 v[44:45], v[46:47], v43
	v_cmp_nlt_f64_e32 vcc, s[72:73], v[34:35]
	v_cmp_ngt_f64_e64 s[2:3], s[74:75], v[34:35]
	s_mov_b32 s42, s50
	v_cndmask_b32_e32 v43, v40, v45, vcc
	s_and_b64 vcc, s[2:3], vcc
	v_cndmask_b32_e64 v35, 0, v43, s[2:3]
	v_cndmask_b32_e32 v34, 0, v44, vcc
	v_add_f64 v[34:35], v[36:37], v[34:35]
	v_frexp_mant_f64_e32 v[36:37], v[34:35]
	v_cmp_gt_f64_e32 vcc, s[76:77], v[36:37]
	v_frexp_exp_i32_f64_e32 v43, v[34:35]
	s_nop 0
	v_cndmask_b32_e64 v44, 0, 1, vcc
	v_ldexp_f64 v[36:37], v[36:37], v44
	v_add_f64 v[44:45], v[36:37], 1.0
	v_rcp_f64_e32 v[46:47], v[44:45]
	v_add_f64 v[50:51], v[44:45], -1.0
	v_add_f64 v[48:49], v[36:37], -1.0
	v_add_f64 v[36:37], v[36:37], -v[50:51]
	v_fma_f64 v[50:51], -v[44:45], v[46:47], 1.0
	v_fmac_f64_e32 v[46:47], v[50:51], v[46:47]
	v_fma_f64 v[50:51], -v[44:45], v[46:47], 1.0
	v_fmac_f64_e32 v[46:47], v[50:51], v[46:47]
	v_mul_f64 v[50:51], v[48:49], v[46:47]
	v_mul_f64 v[52:53], v[44:45], v[50:51]
	v_fma_f64 v[44:45], v[50:51], v[44:45], -v[52:53]
	v_fmac_f64_e32 v[44:45], v[50:51], v[36:37]
	v_add_f64 v[36:37], v[52:53], v[44:45]
	v_add_f64 v[54:55], v[48:49], -v[36:37]
	v_add_f64 v[52:53], v[36:37], -v[52:53]
	v_add_f64 v[48:49], v[48:49], -v[54:55]
	v_add_f64 v[36:37], v[48:49], -v[36:37]
	v_add_f64 v[44:45], v[52:53], -v[44:45]
	v_add_f64 v[36:37], v[44:45], v[36:37]
	v_add_f64 v[36:37], v[54:55], v[36:37]
	v_mul_f64 v[36:37], v[46:47], v[36:37]
	v_add_f64 v[44:45], v[50:51], v[36:37]
	v_add_f64 v[46:47], v[44:45], -v[50:51]
	v_add_f64 v[36:37], v[36:37], -v[46:47]
	v_mul_f64 v[46:47], v[44:45], v[44:45]
	v_mov_b64_e32 v[48:49], v[8:9]
	v_fmac_f64_e32 v[48:49], s[78:79], v[46:47]
	v_mov_b64_e32 v[50:51], v[20:21]
	v_fmac_f64_e32 v[50:51], v[46:47], v[48:49]
	;; [unrolled: 2-line block ×6, first 2 shown]
	v_ldexp_f64 v[48:49], v[44:45], 1
	v_mul_f64 v[44:45], v[44:45], v[46:47]
	v_mul_f64 v[44:45], v[44:45], v[50:51]
	v_add_f64 v[46:47], v[48:49], v[44:45]
	v_add_f64 v[48:49], v[46:47], -v[48:49]
	v_ldexp_f64 v[36:37], v[36:37], 1
	v_add_f64 v[44:45], v[44:45], -v[48:49]
	v_add_f64 v[36:37], v[36:37], v[44:45]
	v_add_f64 v[44:45], v[46:47], v[36:37]
	v_subbrev_co_u32_e32 v43, vcc, 0, v43, vcc
	v_add_f64 v[46:47], v[44:45], -v[46:47]
	v_add_f64 v[36:37], v[36:37], -v[46:47]
	v_cvt_f64_i32_e32 v[46:47], v43
	v_mul_f64 v[48:49], v[46:47], s[40:41]
	v_fma_f64 v[50:51], v[46:47], s[40:41], -v[48:49]
	v_fmac_f64_e32 v[50:51], s[42:43], v[46:47]
	v_add_f64 v[46:47], v[48:49], v[50:51]
	v_add_f64 v[48:49], v[46:47], -v[48:49]
	v_add_f64 v[48:49], v[50:51], -v[48:49]
	v_add_f64 v[50:51], v[46:47], v[44:45]
	v_add_f64 v[52:53], v[50:51], -v[46:47]
	v_add_f64 v[54:55], v[50:51], -v[52:53]
	;; [unrolled: 1-line block ×4, first 2 shown]
	v_add_f64 v[44:45], v[44:45], v[46:47]
	v_add_f64 v[46:47], v[48:49], v[36:37]
	v_add_f64 v[52:53], v[46:47], -v[48:49]
	v_add_f64 v[54:55], v[46:47], -v[52:53]
	v_add_f64 v[44:45], v[46:47], v[44:45]
	v_add_f64 v[48:49], v[48:49], -v[54:55]
	v_add_f64 v[36:37], v[36:37], -v[52:53]
	v_add_f64 v[46:47], v[50:51], v[44:45]
	v_add_f64 v[36:37], v[36:37], v[48:49]
	v_add_f64 v[48:49], v[46:47], -v[50:51]
	v_add_f64 v[44:45], v[44:45], -v[48:49]
	v_add_f64 v[36:37], v[36:37], v[44:45]
	v_add_f64 v[36:37], v[46:47], v[36:37]
	v_cmp_class_f64_e64 vcc, v[34:35], s5
	s_nop 1
	v_cndmask_b32_e32 v36, v36, v34, vcc
	v_cndmask_b32_e32 v37, v37, v35, vcc
	v_cmp_ngt_f64_e32 vcc, 0, v[34:35]
	s_nop 1
	v_cndmask_b32_e32 v37, v41, v37, vcc
	v_cmp_nge_f64_e32 vcc, 0, v[34:35]
	s_nop 1
	v_cndmask_b32_e32 v36, 0, v36, vcc
	v_cmp_neq_f64_e32 vcc, 0, v[34:35]
	s_nop 1
	v_cndmask_b32_e32 v37, v42, v37, vcc
	v_add_f64 v[34:35], v[32:33], v[36:37]
	s_branch .LBB6_3
.LBB6_10:
	v_cmp_lt_i64_e64 s[2:3], s[24:25], 1
	s_and_b64 vcc, exec, s[2:3]
	s_cbranch_vccnz .LBB6_15
; %bb.11:
	s_load_dwordx2 s[2:3], s[0:1], 0x58
	s_load_dwordx4 s[16:19], s[0:1], 0x8
	s_load_dwordx2 s[40:41], s[0:1], 0x28
	s_load_dword s33, s[0:1], 0xe8
	v_mad_u64_u32 v[14:15], s[0:1], v4, s4, 0
	s_waitcnt lgkmcnt(0)
	v_mad_u64_u32 v[10:11], s[0:1], s18, v2, 0
	v_lshl_add_u64 v[8:9], v[2:3], 3, s[2:3]
	v_mov_b32_e32 v12, v11
	global_load_dwordx2 v[8:9], v[8:9], off
	v_mad_u64_u32 v[12:13], s[0:1], s19, v2, v[12:13]
	v_mov_b32_e32 v11, v12
	v_lshl_add_u64 v[10:11], v[10:11], 3, s[16:17]
	global_load_dwordx2 v[10:11], v[10:11], off
	v_mad_u64_u32 v[12:13], s[0:1], s12, v2, 0
	s_waitcnt vmcnt(2)
	v_cmp_lt_i64_e32 vcc, v[4:5], v[6:7]
	v_mul_lo_u32 v3, v5, s10
	v_mul_lo_u32 v7, v4, s11
	v_mad_u64_u32 v[4:5], s[2:3], v4, s10, 0
	v_mov_b32_e32 v6, v13
	v_add3_u32 v5, v5, v7, v3
	v_mad_u64_u32 v[2:3], s[12:13], s13, v2, v[6:7]
	s_mov_b32 s0, 0
	v_mov_b32_e32 v13, v2
	s_bitcmp1_b32 s33, 0
	s_mov_b32 s1, 0x7ff00000
	v_lshl_add_u64 v[2:3], v[12:13], 3, s[40:41]
	s_cselect_b64 s[40:41], -1, 0
	s_lshl_b64 s[12:13], s[14:15], 3
	s_xor_b64 s[14:15], s[40:41], -1
	s_mov_b32 s2, 0x652b82fe
	s_mov_b32 s4, 0xfefa39ef
	;; [unrolled: 1-line block ×14, first 2 shown]
	v_add3_u32 v15, v15, v39, v38
	s_mov_b32 s40, 0
	s_mov_b32 s3, 0x3ff71547
	;; [unrolled: 1-line block ×15, first 2 shown]
	v_lshl_add_u64 v[0:1], v[14:15], 3, v[0:1]
	v_lshl_add_u64 v[2:3], v[4:5], 3, v[2:3]
	s_lshl_b64 s[8:9], s[8:9], 3
	s_mov_b32 s41, 0xc090cc00
	v_mov_b32_e32 v6, 0x7ff00000
	s_waitcnt vmcnt(1)
	v_cmp_neq_f64_e64 s[0:1], s[0:1], v[8:9]
	s_or_b64 s[0:1], s[14:15], s[0:1]
	s_and_b64 s[14:15], vcc, s[0:1]
	s_branch .LBB6_13
.LBB6_12:                               ;   in Loop: Header=BB6_13 Depth=1
	s_or_b64 exec, exec, s[42:43]
	s_add_u32 s24, s24, -1
	s_addc_u32 s25, s25, -1
	global_store_dwordx2 v[0:1], v[4:5], off
	v_lshl_add_u64 v[2:3], v[2:3], 0, s[12:13]
	s_cmp_lg_u64 s[24:25], 0
	v_lshl_add_u64 v[0:1], v[0:1], 0, s[8:9]
	s_cbranch_scc0 .LBB6_15
.LBB6_13:                               ; =>This Inner Loop Header: Depth=1
	v_mov_b64_e32 v[4:5], 0
	s_and_saveexec_b64 s[42:43], s[14:15]
	s_cbranch_execz .LBB6_12
; %bb.14:                               ;   in Loop: Header=BB6_13 Depth=1
	global_load_dwordx2 v[4:5], v[2:3], off
	global_load_dwordx2 v[12:13], v[0:1], off
	v_mov_b64_e32 v[14:15], s[10:11]
	s_waitcnt vmcnt(1)
	v_mul_f64 v[16:17], v[4:5], s[2:3]
	s_waitcnt vmcnt(0)
	v_add_f64 v[12:13], v[8:9], v[12:13]
	v_rndne_f64_e32 v[16:17], v[16:17]
	v_add_f64 v[12:13], v[12:13], -v[4:5]
	v_fma_f64 v[18:19], s[4:5], v[16:17], v[4:5]
	v_mul_f64 v[20:21], v[12:13], s[2:3]
	v_cvt_i32_f64_e32 v7, v[16:17]
	v_fmac_f64_e32 v[18:19], s[6:7], v[16:17]
	v_rndne_f64_e32 v[16:17], v[20:21]
	v_fma_f64 v[20:21], s[16:17], v[18:19], v[14:15]
	v_fma_f64 v[22:23], s[4:5], v[16:17], v[12:13]
	;; [unrolled: 1-line block ×3, first 2 shown]
	v_fmac_f64_e32 v[22:23], s[6:7], v[16:17]
	v_cvt_i32_f64_e32 v24, v[16:17]
	v_fma_f64 v[16:17], v[18:19], v[20:21], s[20:21]
	v_fmac_f64_e32 v[14:15], s[16:17], v[22:23]
	v_fma_f64 v[16:17], v[18:19], v[16:17], s[22:23]
	v_fma_f64 v[14:15], v[22:23], v[14:15], s[18:19]
	;; [unrolled: 1-line block ×12, first 2 shown]
	v_fma_f64 v[16:17], v[18:19], v[16:17], 1.0
	v_fma_f64 v[14:15], v[22:23], v[14:15], s[34:35]
	v_fma_f64 v[16:17], v[18:19], v[16:17], 1.0
	v_fma_f64 v[14:15], v[22:23], v[14:15], s[36:37]
	v_ldexp_f64 v[16:17], v[16:17], v7
	v_fma_f64 v[14:15], v[22:23], v[14:15], 1.0
	v_cmp_nlt_f64_e32 vcc, s[38:39], v[4:5]
	v_cmp_ngt_f64_e64 s[0:1], s[40:41], v[4:5]
	v_fma_f64 v[14:15], v[22:23], v[14:15], 1.0
	v_cndmask_b32_e32 v7, v6, v17, vcc
	s_and_b64 vcc, s[0:1], vcc
	v_cndmask_b32_e64 v5, 0, v7, s[0:1]
	v_cndmask_b32_e32 v4, 0, v16, vcc
	v_ldexp_f64 v[14:15], v[14:15], v24
	v_cmp_nlt_f64_e32 vcc, s[38:39], v[12:13]
	v_cmp_ngt_f64_e64 s[0:1], s[40:41], v[12:13]
	s_nop 0
	v_cndmask_b32_e32 v7, v6, v15, vcc
	s_and_b64 vcc, s[0:1], vcc
	v_cndmask_b32_e64 v13, 0, v7, s[0:1]
	v_cndmask_b32_e32 v12, 0, v14, vcc
	v_add_f64 v[4:5], v[4:5], -v[12:13]
	v_mul_f64 v[4:5], v[10:11], v[4:5]
	s_branch .LBB6_12
.LBB6_15:
	s_endpgm
	.section	.rodata,"a",@progbits
	.p2align	6, 0x0
	.amdhsa_kernel _ZN2at6native12_GLOBAL__N_136ctc_loss_backward_collect_gpu_kernelIdlEEvPT_PKS3_lS6_S6_S6_PKllPKT0_S8_lS6_llllllllllllS8_llllb
		.amdhsa_group_segment_fixed_size 0
		.amdhsa_private_segment_fixed_size 0
		.amdhsa_kernarg_size 496
		.amdhsa_user_sgpr_count 2
		.amdhsa_user_sgpr_dispatch_ptr 0
		.amdhsa_user_sgpr_queue_ptr 0
		.amdhsa_user_sgpr_kernarg_segment_ptr 1
		.amdhsa_user_sgpr_dispatch_id 0
		.amdhsa_user_sgpr_kernarg_preload_length 0
		.amdhsa_user_sgpr_kernarg_preload_offset 0
		.amdhsa_user_sgpr_private_segment_size 0
		.amdhsa_uses_dynamic_stack 0
		.amdhsa_enable_private_segment 0
		.amdhsa_system_sgpr_workgroup_id_x 1
		.amdhsa_system_sgpr_workgroup_id_y 1
		.amdhsa_system_sgpr_workgroup_id_z 0
		.amdhsa_system_sgpr_workgroup_info 0
		.amdhsa_system_vgpr_workitem_id 1
		.amdhsa_next_free_vgpr 56
		.amdhsa_next_free_sgpr 80
		.amdhsa_accum_offset 56
		.amdhsa_reserve_vcc 1
		.amdhsa_float_round_mode_32 0
		.amdhsa_float_round_mode_16_64 0
		.amdhsa_float_denorm_mode_32 3
		.amdhsa_float_denorm_mode_16_64 3
		.amdhsa_dx10_clamp 1
		.amdhsa_ieee_mode 1
		.amdhsa_fp16_overflow 0
		.amdhsa_tg_split 0
		.amdhsa_exception_fp_ieee_invalid_op 0
		.amdhsa_exception_fp_denorm_src 0
		.amdhsa_exception_fp_ieee_div_zero 0
		.amdhsa_exception_fp_ieee_overflow 0
		.amdhsa_exception_fp_ieee_underflow 0
		.amdhsa_exception_fp_ieee_inexact 0
		.amdhsa_exception_int_div_zero 0
	.end_amdhsa_kernel
	.section	.text._ZN2at6native12_GLOBAL__N_136ctc_loss_backward_collect_gpu_kernelIdlEEvPT_PKS3_lS6_S6_S6_PKllPKT0_S8_lS6_llllllllllllS8_llllb,"axG",@progbits,_ZN2at6native12_GLOBAL__N_136ctc_loss_backward_collect_gpu_kernelIdlEEvPT_PKS3_lS6_S6_S6_PKllPKT0_S8_lS6_llllllllllllS8_llllb,comdat
.Lfunc_end6:
	.size	_ZN2at6native12_GLOBAL__N_136ctc_loss_backward_collect_gpu_kernelIdlEEvPT_PKS3_lS6_S6_S6_PKllPKT0_S8_lS6_llllllllllllS8_llllb, .Lfunc_end6-_ZN2at6native12_GLOBAL__N_136ctc_loss_backward_collect_gpu_kernelIdlEEvPT_PKS3_lS6_S6_S6_PKllPKT0_S8_lS6_llllllllllllS8_llllb
                                        ; -- End function
	.set _ZN2at6native12_GLOBAL__N_136ctc_loss_backward_collect_gpu_kernelIdlEEvPT_PKS3_lS6_S6_S6_PKllPKT0_S8_lS6_llllllllllllS8_llllb.num_vgpr, 56
	.set _ZN2at6native12_GLOBAL__N_136ctc_loss_backward_collect_gpu_kernelIdlEEvPT_PKS3_lS6_S6_S6_PKllPKT0_S8_lS6_llllllllllllS8_llllb.num_agpr, 0
	.set _ZN2at6native12_GLOBAL__N_136ctc_loss_backward_collect_gpu_kernelIdlEEvPT_PKS3_lS6_S6_S6_PKllPKT0_S8_lS6_llllllllllllS8_llllb.numbered_sgpr, 80
	.set _ZN2at6native12_GLOBAL__N_136ctc_loss_backward_collect_gpu_kernelIdlEEvPT_PKS3_lS6_S6_S6_PKllPKT0_S8_lS6_llllllllllllS8_llllb.num_named_barrier, 0
	.set _ZN2at6native12_GLOBAL__N_136ctc_loss_backward_collect_gpu_kernelIdlEEvPT_PKS3_lS6_S6_S6_PKllPKT0_S8_lS6_llllllllllllS8_llllb.private_seg_size, 0
	.set _ZN2at6native12_GLOBAL__N_136ctc_loss_backward_collect_gpu_kernelIdlEEvPT_PKS3_lS6_S6_S6_PKllPKT0_S8_lS6_llllllllllllS8_llllb.uses_vcc, 1
	.set _ZN2at6native12_GLOBAL__N_136ctc_loss_backward_collect_gpu_kernelIdlEEvPT_PKS3_lS6_S6_S6_PKllPKT0_S8_lS6_llllllllllllS8_llllb.uses_flat_scratch, 0
	.set _ZN2at6native12_GLOBAL__N_136ctc_loss_backward_collect_gpu_kernelIdlEEvPT_PKS3_lS6_S6_S6_PKllPKT0_S8_lS6_llllllllllllS8_llllb.has_dyn_sized_stack, 0
	.set _ZN2at6native12_GLOBAL__N_136ctc_loss_backward_collect_gpu_kernelIdlEEvPT_PKS3_lS6_S6_S6_PKllPKT0_S8_lS6_llllllllllllS8_llllb.has_recursion, 0
	.set _ZN2at6native12_GLOBAL__N_136ctc_loss_backward_collect_gpu_kernelIdlEEvPT_PKS3_lS6_S6_S6_PKllPKT0_S8_lS6_llllllllllllS8_llllb.has_indirect_call, 0
	.section	.AMDGPU.csdata,"",@progbits
; Kernel info:
; codeLenInByte = 3076
; TotalNumSgprs: 86
; NumVgprs: 56
; NumAgprs: 0
; TotalNumVgprs: 56
; ScratchSize: 0
; MemoryBound: 0
; FloatMode: 240
; IeeeMode: 1
; LDSByteSize: 0 bytes/workgroup (compile time only)
; SGPRBlocks: 10
; VGPRBlocks: 6
; NumSGPRsForWavesPerEU: 86
; NumVGPRsForWavesPerEU: 56
; AccumOffset: 56
; Occupancy: 8
; WaveLimiterHint : 1
; COMPUTE_PGM_RSRC2:SCRATCH_EN: 0
; COMPUTE_PGM_RSRC2:USER_SGPR: 2
; COMPUTE_PGM_RSRC2:TRAP_HANDLER: 0
; COMPUTE_PGM_RSRC2:TGID_X_EN: 1
; COMPUTE_PGM_RSRC2:TGID_Y_EN: 1
; COMPUTE_PGM_RSRC2:TGID_Z_EN: 0
; COMPUTE_PGM_RSRC2:TIDIG_COMP_CNT: 1
; COMPUTE_PGM_RSRC3_GFX90A:ACCUM_OFFSET: 13
; COMPUTE_PGM_RSRC3_GFX90A:TG_SPLIT: 0
	.section	.text._ZN2at6native12_GLOBAL__N_130ctc_loss_zero_padded_gradientsIdEEvPT_PKlllllll,"axG",@progbits,_ZN2at6native12_GLOBAL__N_130ctc_loss_zero_padded_gradientsIdEEvPT_PKlllllll,comdat
	.globl	_ZN2at6native12_GLOBAL__N_130ctc_loss_zero_padded_gradientsIdEEvPT_PKlllllll ; -- Begin function _ZN2at6native12_GLOBAL__N_130ctc_loss_zero_padded_gradientsIdEEvPT_PKlllllll
	.p2align	8
	.type	_ZN2at6native12_GLOBAL__N_130ctc_loss_zero_padded_gradientsIdEEvPT_PKlllllll,@function
_ZN2at6native12_GLOBAL__N_130ctc_loss_zero_padded_gradientsIdEEvPT_PKlllllll: ; @_ZN2at6native12_GLOBAL__N_130ctc_loss_zero_padded_gradientsIdEEvPT_PKlllllll
; %bb.0:
	s_load_dword s16, s[0:1], 0x4c
	s_load_dwordx4 s[12:15], s[0:1], 0x30
	s_load_dwordx8 s[4:11], s[0:1], 0x10
	v_bfe_u32 v1, v0, 10, 10
	v_mov_b32_e32 v3, 0
	s_waitcnt lgkmcnt(0)
	s_lshr_b32 s17, s16, 16
	s_mul_i32 s3, s3, s17
	v_add_u32_e32 v2, s3, v1
	v_and_b32_e32 v0, 0x3ff, v0
	v_mov_b32_e32 v1, v3
	s_and_b32 s3, s16, 0xffff
	v_mov_b32_e32 v4, s2
	v_mad_u64_u32 v[0:1], s[2:3], s3, v4, v[0:1]
	v_cmp_gt_i64_e32 vcc, s[12:13], v[2:3]
	v_cmp_gt_i64_e64 s[2:3], s[10:11], v[0:1]
	s_and_b64 s[2:3], vcc, s[2:3]
	s_and_saveexec_b64 s[10:11], s[2:3]
	s_cbranch_execz .LBB7_4
; %bb.1:
	s_load_dwordx2 s[2:3], s[0:1], 0x8
	v_cvt_f64_u32_e32 v[6:7], v1
	v_cvt_f64_u32_e32 v[8:9], v0
	v_ldexp_f64 v[6:7], v[6:7], 32
	v_add_f64 v[6:7], v[6:7], v[8:9]
	s_waitcnt lgkmcnt(0)
	v_lshl_add_u64 v[4:5], v[2:3], 3, s[2:3]
	global_load_dwordx2 v[4:5], v[4:5], off
	v_cmp_gt_i64_e64 s[10:11], s[14:15], 0
	s_mov_b64 s[2:3], 0
	s_waitcnt vmcnt(0)
	v_cvt_f64_i32_e32 v[8:9], v5
	v_cvt_f64_u32_e32 v[4:5], v4
	v_ldexp_f64 v[8:9], v[8:9], 32
	v_add_f64 v[4:5], v[8:9], v[4:5]
	v_cmp_ge_f64_e32 vcc, v[6:7], v[4:5]
	s_and_b64 s[10:11], vcc, s[10:11]
	s_and_b64 exec, exec, s[10:11]
	s_cbranch_execz .LBB7_4
; %bb.2:
	s_load_dwordx2 s[0:1], s[0:1], 0x0
	v_mul_lo_u32 v3, v1, s4
	v_mul_lo_u32 v4, v0, s5
	v_mad_u64_u32 v[0:1], s[4:5], v0, s4, 0
	v_add3_u32 v1, v1, v4, v3
	v_mad_u64_u32 v[4:5], s[4:5], s6, v2, 0
	v_mov_b32_e32 v6, v5
	v_mad_u64_u32 v[2:3], s[4:5], s7, v2, v[6:7]
	v_mov_b32_e32 v5, v2
	s_waitcnt lgkmcnt(0)
	v_lshl_add_u64 v[0:1], v[0:1], 3, s[0:1]
	v_mov_b32_e32 v2, 0
	v_lshl_add_u64 v[0:1], v[4:5], 3, v[0:1]
	s_lshl_b64 s[0:1], s[8:9], 3
	v_mov_b32_e32 v3, v2
.LBB7_3:                                ; =>This Inner Loop Header: Depth=1
	s_add_u32 s2, s2, 1
	s_addc_u32 s3, s3, 0
	v_mov_b64_e32 v[4:5], s[2:3]
	v_cmp_gt_i64_e32 vcc, s[14:15], v[4:5]
	global_store_dwordx2 v[0:1], v[2:3], off
	v_lshl_add_u64 v[0:1], v[0:1], 0, s[0:1]
	s_cbranch_vccnz .LBB7_3
.LBB7_4:
	s_endpgm
	.section	.rodata,"a",@progbits
	.p2align	6, 0x0
	.amdhsa_kernel _ZN2at6native12_GLOBAL__N_130ctc_loss_zero_padded_gradientsIdEEvPT_PKlllllll
		.amdhsa_group_segment_fixed_size 0
		.amdhsa_private_segment_fixed_size 0
		.amdhsa_kernarg_size 320
		.amdhsa_user_sgpr_count 2
		.amdhsa_user_sgpr_dispatch_ptr 0
		.amdhsa_user_sgpr_queue_ptr 0
		.amdhsa_user_sgpr_kernarg_segment_ptr 1
		.amdhsa_user_sgpr_dispatch_id 0
		.amdhsa_user_sgpr_kernarg_preload_length 0
		.amdhsa_user_sgpr_kernarg_preload_offset 0
		.amdhsa_user_sgpr_private_segment_size 0
		.amdhsa_uses_dynamic_stack 0
		.amdhsa_enable_private_segment 0
		.amdhsa_system_sgpr_workgroup_id_x 1
		.amdhsa_system_sgpr_workgroup_id_y 1
		.amdhsa_system_sgpr_workgroup_id_z 0
		.amdhsa_system_sgpr_workgroup_info 0
		.amdhsa_system_vgpr_workitem_id 1
		.amdhsa_next_free_vgpr 10
		.amdhsa_next_free_sgpr 18
		.amdhsa_accum_offset 12
		.amdhsa_reserve_vcc 1
		.amdhsa_float_round_mode_32 0
		.amdhsa_float_round_mode_16_64 0
		.amdhsa_float_denorm_mode_32 3
		.amdhsa_float_denorm_mode_16_64 3
		.amdhsa_dx10_clamp 1
		.amdhsa_ieee_mode 1
		.amdhsa_fp16_overflow 0
		.amdhsa_tg_split 0
		.amdhsa_exception_fp_ieee_invalid_op 0
		.amdhsa_exception_fp_denorm_src 0
		.amdhsa_exception_fp_ieee_div_zero 0
		.amdhsa_exception_fp_ieee_overflow 0
		.amdhsa_exception_fp_ieee_underflow 0
		.amdhsa_exception_fp_ieee_inexact 0
		.amdhsa_exception_int_div_zero 0
	.end_amdhsa_kernel
	.section	.text._ZN2at6native12_GLOBAL__N_130ctc_loss_zero_padded_gradientsIdEEvPT_PKlllllll,"axG",@progbits,_ZN2at6native12_GLOBAL__N_130ctc_loss_zero_padded_gradientsIdEEvPT_PKlllllll,comdat
.Lfunc_end7:
	.size	_ZN2at6native12_GLOBAL__N_130ctc_loss_zero_padded_gradientsIdEEvPT_PKlllllll, .Lfunc_end7-_ZN2at6native12_GLOBAL__N_130ctc_loss_zero_padded_gradientsIdEEvPT_PKlllllll
                                        ; -- End function
	.set _ZN2at6native12_GLOBAL__N_130ctc_loss_zero_padded_gradientsIdEEvPT_PKlllllll.num_vgpr, 10
	.set _ZN2at6native12_GLOBAL__N_130ctc_loss_zero_padded_gradientsIdEEvPT_PKlllllll.num_agpr, 0
	.set _ZN2at6native12_GLOBAL__N_130ctc_loss_zero_padded_gradientsIdEEvPT_PKlllllll.numbered_sgpr, 18
	.set _ZN2at6native12_GLOBAL__N_130ctc_loss_zero_padded_gradientsIdEEvPT_PKlllllll.num_named_barrier, 0
	.set _ZN2at6native12_GLOBAL__N_130ctc_loss_zero_padded_gradientsIdEEvPT_PKlllllll.private_seg_size, 0
	.set _ZN2at6native12_GLOBAL__N_130ctc_loss_zero_padded_gradientsIdEEvPT_PKlllllll.uses_vcc, 1
	.set _ZN2at6native12_GLOBAL__N_130ctc_loss_zero_padded_gradientsIdEEvPT_PKlllllll.uses_flat_scratch, 0
	.set _ZN2at6native12_GLOBAL__N_130ctc_loss_zero_padded_gradientsIdEEvPT_PKlllllll.has_dyn_sized_stack, 0
	.set _ZN2at6native12_GLOBAL__N_130ctc_loss_zero_padded_gradientsIdEEvPT_PKlllllll.has_recursion, 0
	.set _ZN2at6native12_GLOBAL__N_130ctc_loss_zero_padded_gradientsIdEEvPT_PKlllllll.has_indirect_call, 0
	.section	.AMDGPU.csdata,"",@progbits
; Kernel info:
; codeLenInByte = 352
; TotalNumSgprs: 24
; NumVgprs: 10
; NumAgprs: 0
; TotalNumVgprs: 10
; ScratchSize: 0
; MemoryBound: 0
; FloatMode: 240
; IeeeMode: 1
; LDSByteSize: 0 bytes/workgroup (compile time only)
; SGPRBlocks: 2
; VGPRBlocks: 1
; NumSGPRsForWavesPerEU: 24
; NumVGPRsForWavesPerEU: 10
; AccumOffset: 12
; Occupancy: 8
; WaveLimiterHint : 0
; COMPUTE_PGM_RSRC2:SCRATCH_EN: 0
; COMPUTE_PGM_RSRC2:USER_SGPR: 2
; COMPUTE_PGM_RSRC2:TRAP_HANDLER: 0
; COMPUTE_PGM_RSRC2:TGID_X_EN: 1
; COMPUTE_PGM_RSRC2:TGID_Y_EN: 1
; COMPUTE_PGM_RSRC2:TGID_Z_EN: 0
; COMPUTE_PGM_RSRC2:TIDIG_COMP_CNT: 1
; COMPUTE_PGM_RSRC3_GFX90A:ACCUM_OFFSET: 2
; COMPUTE_PGM_RSRC3_GFX90A:TG_SPLIT: 0
	.section	.text._ZN2at6native12_GLOBAL__N_137ctc_loss_backward_log_beta_gpu_kernelIdiEEvPT_PKS3_PKllPKT0_S8_lllllllS8_lll,"axG",@progbits,_ZN2at6native12_GLOBAL__N_137ctc_loss_backward_log_beta_gpu_kernelIdiEEvPT_PKS3_PKllPKT0_S8_lllllllS8_lll,comdat
	.globl	_ZN2at6native12_GLOBAL__N_137ctc_loss_backward_log_beta_gpu_kernelIdiEEvPT_PKS3_PKllPKT0_S8_lllllllS8_lll ; -- Begin function _ZN2at6native12_GLOBAL__N_137ctc_loss_backward_log_beta_gpu_kernelIdiEEvPT_PKS3_PKllPKT0_S8_lllllllS8_lll
	.p2align	8
	.type	_ZN2at6native12_GLOBAL__N_137ctc_loss_backward_log_beta_gpu_kernelIdiEEvPT_PKS3_PKllPKT0_S8_lllllllS8_lll,@function
_ZN2at6native12_GLOBAL__N_137ctc_loss_backward_log_beta_gpu_kernelIdiEEvPT_PKS3_PKllPKT0_S8_lllllllS8_lll: ; @_ZN2at6native12_GLOBAL__N_137ctc_loss_backward_log_beta_gpu_kernelIdiEEvPT_PKS3_PKllPKT0_S8_lllllllS8_lll
; %bb.0:
	s_load_dword s2, s[0:1], 0x94
	s_load_dwordx4 s[20:23], s[0:1], 0x70
	s_add_u32 s12, s0, 0x88
	s_addc_u32 s13, s1, 0
	v_bfe_u32 v1, v0, 10, 10
	s_waitcnt lgkmcnt(0)
	s_lshr_b32 s2, s2, 16
	s_mul_i32 s3, s3, s2
	v_add_u32_e32 v12, s3, v1
	v_mov_b32_e32 v13, 0
	v_cmp_gt_i64_e32 vcc, s[22:23], v[12:13]
	s_and_saveexec_b64 s[2:3], vcc
	s_cbranch_execz .LBB8_43
; %bb.1:
	s_load_dwordx2 s[2:3], s[0:1], 0x10
	s_waitcnt lgkmcnt(0)
	v_lshl_add_u64 v[2:3], v[12:13], 3, s[2:3]
	global_load_dwordx2 v[2:3], v[2:3], off
	s_waitcnt vmcnt(0)
	v_cmp_ne_u64_e32 vcc, 0, v[2:3]
	s_and_b64 exec, exec, vcc
	s_cbranch_execz .LBB8_43
; %bb.2:
	s_load_dwordx2 s[2:3], s[0:1], 0x28
	s_load_dwordx2 s[4:5], s[0:1], 0x68
	v_lshlrev_b64 v[4:5], 3, v[12:13]
	s_waitcnt lgkmcnt(0)
	v_lshl_add_u64 v[6:7], s[2:3], 0, v[4:5]
	v_lshl_add_u64 v[4:5], s[4:5], 0, v[4:5]
	global_load_dwordx2 v[14:15], v[6:7], off
	global_load_dwordx2 v[8:9], v[4:5], off
	s_load_dwordx8 s[4:11], s[0:1], 0x30
	s_load_dword s2, s[12:13], 0xc
	s_waitcnt lgkmcnt(0)
	s_lshl_b64 s[22:23], s[4:5], 1
	s_and_b32 s33, s2, 0xffff
	s_mov_b32 s2, 0
	s_mov_b32 s3, s23
	s_cmp_lg_u64 s[2:3], 0
	s_cbranch_scc0 .LBB8_44
; %bb.3:
	s_add_u32 s2, s33, 0
	s_addc_u32 s3, 0, 0
	s_xor_b64 s[4:5], s[2:3], 0
	v_cvt_f32_u32_e32 v1, s4
	v_cvt_f32_u32_e32 v4, s5
	s_sub_u32 s14, 0, s4
	s_subb_u32 s15, 0, s5
	v_fmamk_f32 v1, v4, 0x4f800000, v1
	v_rcp_f32_e32 v1, v1
	s_nop 0
	v_mul_f32_e32 v1, 0x5f7ffffc, v1
	v_mul_f32_e32 v4, 0x2f800000, v1
	v_trunc_f32_e32 v4, v4
	v_fmamk_f32 v1, v4, 0xcf800000, v1
	v_cvt_u32_f32_e32 v4, v4
	v_cvt_u32_f32_e32 v1, v1
	v_readfirstlane_b32 s16, v4
	v_readfirstlane_b32 s12, v1
	s_mul_i32 s13, s14, s16
	s_mul_hi_u32 s18, s14, s12
	s_mul_i32 s17, s15, s12
	s_add_i32 s13, s18, s13
	s_add_i32 s13, s13, s17
	s_mul_i32 s19, s14, s12
	s_mul_i32 s18, s12, s13
	s_mul_hi_u32 s24, s12, s19
	s_mul_hi_u32 s17, s12, s13
	s_add_u32 s18, s24, s18
	s_addc_u32 s17, 0, s17
	s_mul_hi_u32 s25, s16, s19
	s_mul_i32 s19, s16, s19
	s_add_u32 s18, s18, s19
	s_mul_hi_u32 s24, s16, s13
	s_addc_u32 s17, s17, s25
	s_addc_u32 s18, s24, 0
	s_mul_i32 s13, s16, s13
	s_add_u32 s13, s17, s13
	s_addc_u32 s17, 0, s18
	s_add_u32 s18, s12, s13
	s_cselect_b64 s[12:13], -1, 0
	s_cmp_lg_u64 s[12:13], 0
	s_addc_u32 s16, s16, s17
	s_mul_i32 s12, s14, s16
	s_mul_hi_u32 s13, s14, s18
	s_add_i32 s12, s13, s12
	s_mul_i32 s15, s15, s18
	s_add_i32 s12, s12, s15
	s_mul_i32 s14, s14, s18
	s_mul_hi_u32 s15, s16, s14
	s_mul_i32 s17, s16, s14
	s_mul_i32 s24, s18, s12
	s_mul_hi_u32 s14, s18, s14
	s_mul_hi_u32 s19, s18, s12
	s_add_u32 s14, s14, s24
	s_addc_u32 s19, 0, s19
	s_add_u32 s14, s14, s17
	s_mul_hi_u32 s13, s16, s12
	s_addc_u32 s14, s19, s15
	s_addc_u32 s13, s13, 0
	s_mul_i32 s12, s16, s12
	s_add_u32 s12, s14, s12
	s_addc_u32 s14, 0, s13
	s_add_u32 s17, s18, s12
	s_cselect_b64 s[12:13], -1, 0
	s_cmp_lg_u64 s[12:13], 0
	s_addc_u32 s16, s16, s14
	s_ashr_i32 s12, s23, 31
	s_add_u32 s14, s22, s12
	s_mov_b32 s13, s12
	s_addc_u32 s15, s23, s12
	s_xor_b64 s[14:15], s[14:15], s[12:13]
	s_mul_i32 s19, s14, s16
	s_mul_hi_u32 s24, s14, s17
	s_mul_hi_u32 s18, s14, s16
	s_add_u32 s19, s24, s19
	s_addc_u32 s18, 0, s18
	s_mul_hi_u32 s25, s15, s17
	s_mul_i32 s17, s15, s17
	s_add_u32 s17, s19, s17
	s_mul_hi_u32 s24, s15, s16
	s_addc_u32 s17, s18, s25
	s_addc_u32 s18, s24, 0
	s_mul_i32 s16, s15, s16
	s_add_u32 s16, s17, s16
	s_addc_u32 s17, 0, s18
	s_mul_i32 s17, s4, s17
	s_mul_hi_u32 s18, s4, s16
	s_add_i32 s17, s18, s17
	s_mul_i32 s18, s5, s16
	s_add_i32 s24, s17, s18
	s_sub_i32 s18, s15, s24
	s_mul_i32 s16, s4, s16
	s_sub_u32 s14, s14, s16
	s_cselect_b64 s[16:17], -1, 0
	s_cmp_lg_u64 s[16:17], 0
	s_subb_u32 s25, s18, s5
	s_sub_u32 s26, s14, s4
	s_cselect_b64 s[18:19], -1, 0
	s_cmp_lg_u64 s[18:19], 0
	s_subb_u32 s27, s25, 0
	s_cmp_ge_u32 s27, s5
	s_cselect_b32 s28, -1, 0
	s_cmp_ge_u32 s26, s4
	s_cselect_b32 s29, -1, 0
	s_cmp_eq_u32 s27, s5
	s_cselect_b32 s28, s29, s28
	s_cmp_lg_u64 s[18:19], 0
	s_subb_u32 s25, s25, s5
	s_sub_u32 s29, s26, s4
	s_cselect_b64 s[18:19], -1, 0
	s_cmp_lg_u64 s[18:19], 0
	s_subb_u32 s18, s25, 0
	s_cmp_lg_u32 s28, 0
	s_cselect_b32 s19, s29, s26
	s_cselect_b32 s18, s18, s27
	s_cmp_lg_u64 s[16:17], 0
	s_subb_u32 s15, s15, s24
	s_cmp_ge_u32 s15, s5
	s_cselect_b32 s16, -1, 0
	s_cmp_ge_u32 s14, s4
	s_cselect_b32 s4, -1, 0
	s_cmp_eq_u32 s15, s5
	s_cselect_b32 s4, s4, s16
	s_cmp_lg_u32 s4, 0
	s_cselect_b32 s5, s18, s15
	s_cselect_b32 s4, s19, s14
	s_xor_b64 s[4:5], s[4:5], s[12:13]
	s_sub_u32 s36, s4, s12
	s_subb_u32 s37, s5, s12
	s_cbranch_execnz .LBB8_5
.LBB8_4:
	v_cvt_f32_u32_e32 v1, s33
	s_sub_i32 s2, 0, s33
	s_mov_b32 s37, 0
	v_rcp_iflag_f32_e32 v1, v1
	s_nop 0
	v_mul_f32_e32 v1, 0x4f7ffffe, v1
	v_cvt_u32_f32_e32 v1, v1
	s_nop 0
	v_readfirstlane_b32 s3, v1
	s_mul_i32 s2, s2, s3
	s_mul_hi_u32 s2, s3, s2
	s_add_i32 s3, s3, s2
	s_mul_hi_u32 s2, s22, s3
	s_mul_i32 s2, s2, s33
	s_sub_i32 s2, s22, s2
	s_sub_i32 s3, s2, s33
	s_cmp_ge_u32 s2, s33
	s_cselect_b32 s2, s3, s2
	s_sub_i32 s3, s2, s33
	s_cmp_ge_u32 s2, s33
	s_cselect_b32 s36, s3, s2
.LBB8_5:
	s_sub_u32 s28, s22, s36
	s_subb_u32 s29, s23, s37
	v_cmp_lt_i64_e64 s[2:3], s[28:29], 0
	s_and_b64 vcc, exec, s[2:3]
	s_cbranch_vccnz .LBB8_43
; %bb.6:
	s_load_dwordx2 s[30:31], s[0:1], 0x80
	s_load_dwordx8 s[12:19], s[0:1], 0x50
	s_load_dwordx4 s[24:27], s[0:1], 0x0
	s_load_dwordx2 s[2:3], s[0:1], 0x20
	v_mad_u64_u32 v[22:23], s[4:5], s8, v12, 0
	v_mov_b32_e32 v4, v23
	v_lshl_add_u64 v[10:11], v[2:3], 0, -1
	v_mad_u64_u32 v[4:5], s[4:5], s9, v12, v[4:5]
	s_waitcnt vmcnt(0) lgkmcnt(0)
	v_lshl_add_u64 v[8:9], v[8:9], 2, s[2:3]
	v_mad_u64_u32 v[16:17], s[2:3], v10, s6, 0
	v_mov_b32_e32 v23, v4
	v_lshlrev_b64 v[4:5], 1, v[14:15]
	v_mul_lo_u32 v13, v11, s6
	v_mul_lo_u32 v18, v10, s7
	s_mul_i32 s2, s30, s11
	s_mul_hi_u32 s3, s30, s10
	v_lshl_add_u64 v[6:7], v[4:5], 0, -1
	v_add3_u32 v17, v17, v18, v13
	v_lshl_add_u64 v[18:19], v[22:23], 3, s[26:27]
	s_add_i32 s2, s3, s2
	s_mul_i32 s3, s31, s10
	v_lshl_add_u64 v[16:17], v[16:17], 3, v[18:19]
	s_add_i32 s3, s2, s3
	s_mul_i32 s2, s30, s10
	v_alignbit_b32 v13, v7, v6, 1
	v_lshl_add_u64 v[26:27], s[2:3], 3, v[16:17]
	v_mul_lo_u32 v20, v13, s21
	v_mad_u64_u32 v[18:19], s[2:3], v13, s20, 0
	v_lshrrev_b32_e32 v13, 1, v7
	v_and_b32_e32 v0, 0x3ff, v0
	v_mov_b32_e32 v1, 0
	v_mul_lo_u32 v13, v13, s20
	v_add3_u32 v19, v19, v20, v13
	v_lshl_add_u64 v[20:21], s[22:23], 0, v[0:1]
	v_mov_b32_e32 v13, s37
	v_subrev_co_u32_e64 v24, s[4:5], s36, v20
	v_lshl_add_u64 v[28:29], v[18:19], 2, v[8:9]
	s_nop 0
	v_subb_co_u32_e64 v25, vcc, v21, v13, s[4:5]
	v_mul_lo_u32 v13, s17, v24
	v_mul_lo_u32 v20, s16, v25
	v_mad_u64_u32 v[18:19], s[2:3], s16, v24, 0
	v_add3_u32 v19, v19, v20, v13
	v_mul_lo_u32 v13, s15, v10
	v_mul_lo_u32 v20, s14, v11
	v_mad_u64_u32 v[30:31], s[2:3], s14, v10, 0
	v_mad_u64_u32 v[32:33], s[2:3], s12, v12, 0
	v_add3_u32 v31, v31, v20, v13
	v_mov_b32_e32 v20, v33
	v_mad_u64_u32 v[12:13], s[2:3], s13, v12, v[20:21]
	s_mul_i32 s2, s17, s33
	s_mul_hi_u32 s3, s16, s33
	v_lshlrev_b64 v[18:19], 3, v[18:19]
	v_mov_b32_e32 v33, v12
	s_add_i32 s3, s3, s2
	s_mul_i32 s2, s16, s33
	v_lshl_add_u64 v[30:31], v[30:31], 3, v[18:19]
	v_lshlrev_b64 v[12:13], 3, v[32:33]
	s_lshl_b64 s[2:3], s[2:3], 3
	v_sub_co_u32_e32 v32, vcc, v4, v0
	v_lshl_add_u64 v[30:31], v[30:31], 0, v[12:13]
	s_sub_u32 s12, 0, s2
	v_subbrev_co_u32_e32 v33, vcc, 0, v5, vcc
	v_lshl_add_u64 v[30:31], s[24:25], 0, v[30:31]
	s_subb_u32 s13, 0, s3
	v_lshl_add_u64 v[34:35], v[32:33], 0, -1
	s_mov_b64 s[2:3], s[28:29]
	s_branch .LBB8_8
.LBB8_7:                                ;   in Loop: Header=BB8_8 Depth=1
	s_or_b64 exec, exec, s[8:9]
	s_sub_u32 s2, s2, s33
	s_subb_u32 s3, s3, 0
	v_cmp_lt_i64_e64 s[8:9], s[2:3], 0
	v_lshl_add_u64 v[30:31], v[30:31], 0, s[12:13]
	s_and_b64 vcc, exec, s[8:9]
	s_cbranch_vccnz .LBB8_16
.LBB8_8:                                ; =>This Inner Loop Header: Depth=1
	v_cmp_ne_u64_e32 vcc, s[2:3], v[32:33]
                                        ; implicit-def: $vgpr36_vgpr37
	s_and_saveexec_b64 s[8:9], vcc
	s_xor_b64 s[8:9], exec, s[8:9]
	s_cbranch_execz .LBB8_12
; %bb.9:                                ;   in Loop: Header=BB8_8 Depth=1
	s_waitcnt vmcnt(0)
	v_mov_b32_e32 v36, 0
	v_cmp_eq_u64_e32 vcc, s[2:3], v[34:35]
	v_mov_b32_e32 v37, 0xfff00000
	s_and_saveexec_b64 s[18:19], vcc
	s_cbranch_execz .LBB8_11
; %bb.10:                               ;   in Loop: Header=BB8_8 Depth=1
	global_load_dword v20, v[28:29], off
	s_waitcnt vmcnt(0)
	v_ashrrev_i32_e32 v36, 31, v20
	v_mul_lo_u32 v38, s11, v20
	v_mul_lo_u32 v39, s10, v36
	v_mad_u64_u32 v[36:37], s[34:35], s10, v20, 0
	v_add3_u32 v37, v37, v39, v38
	v_lshl_add_u64 v[36:37], v[36:37], 3, v[16:17]
	global_load_dwordx2 v[36:37], v[36:37], off
.LBB8_11:                               ;   in Loop: Header=BB8_8 Depth=1
	s_or_b64 exec, exec, s[18:19]
.LBB8_12:                               ;   in Loop: Header=BB8_8 Depth=1
	s_andn2_saveexec_b64 s[8:9], s[8:9]
	s_cbranch_execz .LBB8_14
; %bb.13:                               ;   in Loop: Header=BB8_8 Depth=1
	global_load_dwordx2 v[36:37], v[26:27], off
.LBB8_14:                               ;   in Loop: Header=BB8_8 Depth=1
	s_or_b64 exec, exec, s[8:9]
	v_lshl_add_u64 v[38:39], v[0:1], 0, s[2:3]
	v_cmp_ge_i64_e32 vcc, s[22:23], v[38:39]
	s_and_saveexec_b64 s[8:9], vcc
	s_cbranch_execz .LBB8_7
; %bb.15:                               ;   in Loop: Header=BB8_8 Depth=1
	s_waitcnt vmcnt(0)
	global_store_dwordx2 v[30:31], v[36:37], off
	s_branch .LBB8_7
.LBB8_16:
	s_load_dwordx2 s[8:9], s[0:1], 0x18
	v_cmp_lt_i64_e64 s[0:1], 0, v[14:15]
	v_cmp_ne_u64_e64 s[2:3], 0, v[14:15]
	v_lshl_add_u64 v[26:27], v[24:25], 3, 8
	v_mul_lo_u32 v20, s16, v27
	s_waitcnt lgkmcnt(0)
	s_add_u32 s18, s8, -2
	s_addc_u32 s19, s9, -1
	s_mul_hi_u32 s34, s14, s18
	s_mul_i32 s36, s14, s19
	s_mul_i32 s35, s15, s18
	s_add_i32 s34, s34, s36
	s_add_i32 s35, s34, s35
	s_mul_i32 s34, s14, s18
	s_lshl_b64 s[34:35], s[34:35], 3
	s_add_u32 s34, s24, s34
	s_addc_u32 s35, s25, s35
	v_lshl_add_u64 v[14:15], s[34:35], 0, v[18:19]
	s_lshl_b64 s[34:35], s[14:15], 3
	s_sub_u32 s34, 0, s34
	s_subb_u32 s35, 0, s35
	s_add_u32 s36, s8, -1
	s_addc_u32 s38, s9, -1
	s_mul_i32 s38, s14, s38
	s_mul_hi_u32 s39, s14, s36
	s_add_i32 s38, s39, s38
	s_mul_i32 s15, s15, s36
	s_add_i32 s15, s38, s15
	s_mul_i32 s14, s14, s36
	s_lshl_b64 s[14:15], s[14:15], 3
	s_add_u32 s14, s24, s14
	s_addc_u32 s15, s25, s15
	v_mov_b64_e32 v[16:17], s[14:15]
	v_mad_u64_u32 v[16:17], s[24:25], s16, v26, v[16:17]
	v_mul_lo_u32 v25, s17, v26
	v_add3_u32 v17, v25, v17, v20
	v_mov_b32_e32 v20, s37
	v_subb_co_u32_e64 v25, vcc, v21, v20, s[4:5]
	v_lshl_add_u64 v[20:21], v[24:25], 0, 2
	v_mul_lo_u32 v24, s17, v20
	v_mul_lo_u32 v25, s16, v21
	v_mad_u64_u32 v[20:21], s[4:5], s16, v20, 0
	s_mul_i32 s4, s6, s19
	s_mul_hi_u32 s5, s6, s18
	s_add_i32 s4, s5, s4
	s_mul_i32 s5, s7, s18
	s_add_i32 s5, s4, s5
	s_mul_i32 s4, s6, s18
	s_lshl_b64 s[4:5], s[4:5], 3
	s_add_u32 s4, s26, s4
	s_addc_u32 s5, s27, s5
	v_add3_u32 v21, v21, v25, v24
	v_lshl_add_u64 v[22:23], v[22:23], 3, s[4:5]
	s_lshl_b64 s[10:11], s[10:11], 3
	s_lshl_b64 s[4:5], s[6:7], 3
	v_lshl_add_u64 v[18:19], s[14:15], 0, v[18:19]
	v_lshl_add_u64 v[20:21], v[20:21], 3, s[14:15]
	s_sub_u32 s14, 0, s4
	s_mov_b32 s24, 0
	s_mov_b32 s26, 0x652b82fe
	;; [unrolled: 1-line block ×18, first 2 shown]
	s_subb_u32 s15, 0, s5
	v_cmp_gt_i64_e64 s[16:17], s[8:9], 1
	s_mov_b32 s25, 0xfff00000
	s_mov_b32 s27, 0x3ff71547
	;; [unrolled: 1-line block ×20, first 2 shown]
	s_movk_i32 s86, 0x204
	v_mov_b32_e32 v54, 0x7ff00000
	v_mov_b32_e32 v24, 0x6b47b09a
	;; [unrolled: 1-line block ×14, first 2 shown]
	s_branch .LBB8_18
.LBB8_17:                               ;   in Loop: Header=BB8_18 Depth=1
	s_sub_u32 s28, s28, s33
	s_subb_u32 s29, s29, 0
	v_cmp_lt_i64_e64 s[4:5], s[28:29], 0
	v_lshl_add_u64 v[14:15], v[14:15], 0, s[12:13]
	v_lshl_add_u64 v[16:17], v[16:17], 0, s[12:13]
	;; [unrolled: 1-line block ×4, first 2 shown]
	s_and_b64 vcc, exec, s[4:5]
	s_cbranch_vccnz .LBB8_43
.LBB8_18:                               ; =>This Loop Header: Depth=1
                                        ;     Child Loop BB8_29 Depth 2
	s_waitcnt vmcnt(0)
	v_lshl_add_u64 v[36:37], s[28:29], 0, v[0:1]
	v_cmp_le_i64_e64 s[6:7], v[36:37], v[4:5]
	s_and_b64 s[4:5], s[0:1], s[6:7]
	v_mov_b64_e32 v[38:39], s[30:31]
	s_mov_b64 s[72:73], 0
	s_and_saveexec_b64 s[8:9], s[4:5]
	s_cbranch_execz .LBB8_26
; %bb.19:                               ;   in Loop: Header=BB8_18 Depth=1
	v_and_b32_e32 v38, 1, v36
	v_cmp_eq_u32_e32 vcc, 1, v38
	v_mov_b64_e32 v[38:39], s[30:31]
	s_and_saveexec_b64 s[4:5], vcc
	s_cbranch_execz .LBB8_21
; %bb.20:                               ;   in Loop: Header=BB8_18 Depth=1
	v_alignbit_b32 v38, v37, v36, 1
	v_lshrrev_b32_e32 v41, 1, v37
	v_mul_lo_u32 v40, v38, s21
	v_mad_u64_u32 v[38:39], s[72:73], v38, s20, 0
	v_mul_lo_u32 v41, v41, s20
	v_add3_u32 v39, v39, v40, v41
	v_lshl_add_u64 v[38:39], v[38:39], 2, v[8:9]
	global_load_dword v38, v[38:39], off
	s_waitcnt vmcnt(0)
	v_ashrrev_i32_e32 v39, 31, v38
.LBB8_21:                               ;   in Loop: Header=BB8_18 Depth=1
	s_or_b64 exec, exec, s[4:5]
	v_cmp_lt_i64_e64 s[4:5], v[36:37], v[6:7]
	s_mov_b64 s[74:75], 0
	s_and_saveexec_b64 s[72:73], s[4:5]
	s_cbranch_execz .LBB8_25
; %bb.22:                               ;   in Loop: Header=BB8_18 Depth=1
	v_mov_b64_e32 v[40:41], s[30:31]
	s_and_saveexec_b64 s[4:5], vcc
	s_cbranch_execz .LBB8_24
; %bb.23:                               ;   in Loop: Header=BB8_18 Depth=1
	v_lshl_add_u64 v[40:41], v[36:37], 0, 2
	v_alignbit_b32 v40, v41, v40, 1
	v_mul_lo_u32 v44, v40, s21
	v_mad_u64_u32 v[42:43], s[74:75], v40, s20, 0
	v_lshrrev_b32_e32 v40, 1, v41
	v_mul_lo_u32 v40, v40, s20
	v_add3_u32 v43, v43, v44, v40
	v_lshl_add_u64 v[40:41], v[42:43], 2, v[8:9]
	global_load_dword v40, v[40:41], off
	s_waitcnt vmcnt(0)
	v_ashrrev_i32_e32 v41, 31, v40
.LBB8_24:                               ;   in Loop: Header=BB8_18 Depth=1
	s_or_b64 exec, exec, s[4:5]
	v_cmp_ne_u64_e32 vcc, v[40:41], v[38:39]
	s_and_b64 s[74:75], vcc, exec
.LBB8_25:                               ;   in Loop: Header=BB8_18 Depth=1
	s_or_b64 exec, exec, s[72:73]
	s_and_b64 s[72:73], s[74:75], exec
.LBB8_26:                               ;   in Loop: Header=BB8_18 Depth=1
	s_or_b64 exec, exec, s[8:9]
	s_andn2_b64 vcc, exec, s[16:17]
	s_cbranch_vccnz .LBB8_17
; %bb.27:                               ;   in Loop: Header=BB8_18 Depth=1
	v_cmp_gt_i64_e64 s[4:5], 1, v[36:37]
	s_or_b64 s[8:9], s[2:3], s[4:5]
	v_cmp_lt_i64_e32 vcc, s[22:23], v[36:37]
	v_cmp_lt_i64_e64 s[4:5], v[36:37], v[4:5]
	s_and_b64 s[74:75], s[8:9], s[6:7]
	v_mad_u64_u32 v[36:37], s[8:9], s10, v38, v[22:23]
	v_mul_lo_u32 v39, s10, v39
	v_mul_lo_u32 v38, s11, v38
	v_add3_u32 v37, v38, v37, v39
	s_xor_b64 s[76:77], s[6:7], -1
	v_mov_b64_e32 v[38:39], v[20:21]
	v_mov_b64_e32 v[40:41], v[18:19]
	;; [unrolled: 1-line block ×4, first 2 shown]
	s_mov_b64 s[78:79], s[18:19]
	s_branch .LBB8_29
.LBB8_28:                               ;   in Loop: Header=BB8_29 Depth=2
	s_or_b64 exec, exec, s[6:7]
	s_add_u32 s78, s78, -1
	s_addc_u32 s79, s79, -1
	v_lshl_add_u64 v[44:45], v[44:45], 0, s[34:35]
	v_lshl_add_u64 v[42:43], v[42:43], 0, s[34:35]
	;; [unrolled: 1-line block ×4, first 2 shown]
	s_cmp_eq_u64 s[78:79], -1
	v_lshl_add_u64 v[36:37], v[36:37], 0, s[14:15]
	s_cbranch_scc1 .LBB8_17
.LBB8_29:                               ;   Parent Loop BB8_18 Depth=1
                                        ; =>  This Inner Loop Header: Depth=2
	v_cmp_ge_i64_e64 s[6:7], s[78:79], v[10:11]
	s_or_b64 s[6:7], s[76:77], s[6:7]
	s_mov_b64 s[80:81], 0
	s_barrier
	s_and_saveexec_b64 s[8:9], s[6:7]
	s_xor_b64 s[8:9], exec, s[8:9]
; %bb.30:                               ;   in Loop: Header=BB8_29 Depth=2
	v_cmp_lt_i64_e64 s[6:7], s[78:79], v[2:3]
	s_and_b64 s[6:7], s[6:7], s[74:75]
	s_nor_b64 s[6:7], vcc, s[6:7]
	s_and_b64 s[80:81], s[6:7], exec
; %bb.31:                               ;   in Loop: Header=BB8_29 Depth=2
	s_or_saveexec_b64 s[82:83], s[8:9]
	v_mov_b32_e32 v46, 0
	v_mov_b32_e32 v47, 0xfff00000
	s_xor_b64 exec, exec, s[82:83]
	s_cbranch_execz .LBB8_41
; %bb.32:                               ;   in Loop: Header=BB8_29 Depth=2
	v_lshl_add_u64 v[46:47], v[40:41], 0, v[12:13]
	global_load_dwordx2 v[52:53], v[46:47], off
	v_mov_b32_e32 v48, 0
	v_mov_b32_e32 v50, 0
	;; [unrolled: 1-line block ×4, first 2 shown]
	s_waitcnt vmcnt(0)
	v_mov_b64_e32 v[46:47], v[52:53]
	s_and_saveexec_b64 s[8:9], s[4:5]
	s_cbranch_execz .LBB8_36
; %bb.33:                               ;   in Loop: Header=BB8_29 Depth=2
	v_lshl_add_u64 v[46:47], v[42:43], 0, v[12:13]
	global_load_dwordx2 v[50:51], v[46:47], off
	v_mov_b64_e32 v[46:47], v[52:53]
	s_waitcnt vmcnt(0)
	v_cmp_gt_f64_e64 s[6:7], v[50:51], v[52:53]
	s_and_saveexec_b64 s[84:85], s[6:7]
; %bb.34:                               ;   in Loop: Header=BB8_29 Depth=2
	v_mov_b64_e32 v[46:47], v[50:51]
; %bb.35:                               ;   in Loop: Header=BB8_29 Depth=2
	s_or_b64 exec, exec, s[84:85]
.LBB8_36:                               ;   in Loop: Header=BB8_29 Depth=2
	s_or_b64 exec, exec, s[8:9]
	s_and_saveexec_b64 s[8:9], s[72:73]
	s_cbranch_execz .LBB8_40
; %bb.37:                               ;   in Loop: Header=BB8_29 Depth=2
	v_lshl_add_u64 v[48:49], v[38:39], 0, v[12:13]
	global_load_dwordx2 v[48:49], v[48:49], off
	s_waitcnt vmcnt(0)
	v_cmp_gt_f64_e64 s[6:7], v[48:49], v[46:47]
	s_and_saveexec_b64 s[84:85], s[6:7]
; %bb.38:                               ;   in Loop: Header=BB8_29 Depth=2
	v_mov_b64_e32 v[46:47], v[48:49]
; %bb.39:                               ;   in Loop: Header=BB8_29 Depth=2
	s_or_b64 exec, exec, s[84:85]
.LBB8_40:                               ;   in Loop: Header=BB8_29 Depth=2
	s_or_b64 exec, exec, s[8:9]
	v_cmp_neq_f64_e64 s[6:7], s[24:25], v[46:47]
	v_mov_b64_e32 v[60:61], s[40:41]
	s_mov_b32 s68, s36
	v_cndmask_b32_e64 v47, 0, v47, s[6:7]
	v_cndmask_b32_e64 v46, 0, v46, s[6:7]
	v_add_f64 v[52:53], v[52:53], -v[46:47]
	v_mul_f64 v[56:57], v[52:53], s[26:27]
	v_rndne_f64_e32 v[56:57], v[56:57]
	v_fma_f64 v[58:59], s[36:37], v[56:57], v[52:53]
	v_fmac_f64_e32 v[58:59], s[38:39], v[56:57]
	v_fma_f64 v[62:63], s[42:43], v[58:59], v[60:61]
	v_fma_f64 v[62:63], v[58:59], v[62:63], s[44:45]
	;; [unrolled: 1-line block ×9, first 2 shown]
	v_fma_f64 v[62:63], v[58:59], v[62:63], 1.0
	v_fma_f64 v[58:59], v[58:59], v[62:63], 1.0
	v_cvt_i32_f64_e32 v56, v[56:57]
	v_ldexp_f64 v[56:57], v[58:59], v56
	v_cmp_nlt_f64_e64 s[6:7], s[60:61], v[52:53]
	v_cmp_ngt_f64_e64 s[8:9], s[62:63], v[52:53]
	v_add_f64 v[50:51], v[50:51], -v[46:47]
	v_cndmask_b32_e64 v57, v54, v57, s[6:7]
	s_and_b64 s[6:7], s[8:9], s[6:7]
	v_cndmask_b32_e64 v53, 0, v57, s[8:9]
	v_cndmask_b32_e64 v52, 0, v56, s[6:7]
	v_mul_f64 v[56:57], v[50:51], s[26:27]
	v_rndne_f64_e32 v[56:57], v[56:57]
	v_fma_f64 v[58:59], s[36:37], v[56:57], v[50:51]
	v_fmac_f64_e32 v[58:59], s[38:39], v[56:57]
	v_fma_f64 v[62:63], s[42:43], v[58:59], v[60:61]
	v_fma_f64 v[62:63], v[58:59], v[62:63], s[44:45]
	;; [unrolled: 1-line block ×9, first 2 shown]
	v_fma_f64 v[62:63], v[58:59], v[62:63], 1.0
	v_fma_f64 v[58:59], v[58:59], v[62:63], 1.0
	v_cvt_i32_f64_e32 v56, v[56:57]
	v_ldexp_f64 v[56:57], v[58:59], v56
	v_cmp_nlt_f64_e64 s[6:7], s[60:61], v[50:51]
	v_cmp_ngt_f64_e64 s[8:9], s[62:63], v[50:51]
	v_add_f64 v[48:49], v[48:49], -v[46:47]
	v_cndmask_b32_e64 v57, v54, v57, s[6:7]
	s_and_b64 s[6:7], s[8:9], s[6:7]
	v_cndmask_b32_e64 v51, 0, v57, s[8:9]
	v_cndmask_b32_e64 v50, 0, v56, s[6:7]
	v_add_f64 v[50:51], v[52:53], v[50:51]
	v_mul_f64 v[52:53], v[48:49], s[26:27]
	v_rndne_f64_e32 v[52:53], v[52:53]
	v_fma_f64 v[56:57], s[36:37], v[52:53], v[48:49]
	v_fmac_f64_e32 v[56:57], s[38:39], v[52:53]
	v_fmac_f64_e32 v[60:61], s[42:43], v[56:57]
	v_fma_f64 v[58:59], v[56:57], v[60:61], s[44:45]
	v_fma_f64 v[58:59], v[56:57], v[58:59], s[46:47]
	;; [unrolled: 1-line block ×8, first 2 shown]
	v_fma_f64 v[58:59], v[56:57], v[58:59], 1.0
	v_fma_f64 v[56:57], v[56:57], v[58:59], 1.0
	v_cvt_i32_f64_e32 v52, v[52:53]
	v_ldexp_f64 v[52:53], v[56:57], v52
	v_cmp_nlt_f64_e64 s[6:7], s[60:61], v[48:49]
	v_cmp_ngt_f64_e64 s[8:9], s[62:63], v[48:49]
	s_mov_b32 s70, s38
	v_cndmask_b32_e64 v53, v54, v53, s[6:7]
	s_and_b64 s[6:7], s[8:9], s[6:7]
	v_cndmask_b32_e64 v49, 0, v53, s[8:9]
	v_cndmask_b32_e64 v48, 0, v52, s[6:7]
	v_add_f64 v[48:49], v[48:49], v[50:51]
	v_frexp_mant_f64_e32 v[50:51], v[48:49]
	v_cmp_gt_f64_e64 s[6:7], s[64:65], v[50:51]
	v_frexp_exp_i32_f64_e32 v52, v[48:49]
	s_or_b64 s[80:81], s[80:81], exec
	v_cndmask_b32_e64 v53, 0, 1, s[6:7]
	v_ldexp_f64 v[50:51], v[50:51], v53
	v_subbrev_co_u32_e64 v68, s[6:7], 0, v52, s[6:7]
	v_add_f64 v[52:53], v[50:51], 1.0
	v_rcp_f64_e32 v[56:57], v[52:53]
	v_add_f64 v[60:61], v[52:53], -1.0
	v_add_f64 v[58:59], v[50:51], -1.0
	v_add_f64 v[50:51], v[50:51], -v[60:61]
	v_fma_f64 v[60:61], -v[52:53], v[56:57], 1.0
	v_fmac_f64_e32 v[56:57], v[60:61], v[56:57]
	global_load_dwordx2 v[60:61], v[36:37], off
	v_fma_f64 v[62:63], -v[52:53], v[56:57], 1.0
	v_fmac_f64_e32 v[56:57], v[62:63], v[56:57]
	v_mul_f64 v[62:63], v[58:59], v[56:57]
	v_mul_f64 v[64:65], v[52:53], v[62:63]
	v_fma_f64 v[52:53], v[62:63], v[52:53], -v[64:65]
	v_fmac_f64_e32 v[52:53], v[62:63], v[50:51]
	v_add_f64 v[50:51], v[64:65], v[52:53]
	v_add_f64 v[66:67], v[58:59], -v[50:51]
	v_add_f64 v[64:65], v[50:51], -v[64:65]
	;; [unrolled: 1-line block ×5, first 2 shown]
	v_add_f64 v[50:51], v[52:53], v[50:51]
	v_add_f64 v[50:51], v[66:67], v[50:51]
	v_mul_f64 v[50:51], v[56:57], v[50:51]
	v_add_f64 v[52:53], v[62:63], v[50:51]
	v_add_f64 v[56:57], v[52:53], -v[62:63]
	v_add_f64 v[50:51], v[50:51], -v[56:57]
	v_mul_f64 v[56:57], v[52:53], v[52:53]
	v_mov_b64_e32 v[58:59], v[24:25]
	v_fmac_f64_e32 v[58:59], s[66:67], v[56:57]
	v_mov_b64_e32 v[62:63], v[26:27]
	v_fmac_f64_e32 v[62:63], v[56:57], v[58:59]
	;; [unrolled: 2-line block ×6, first 2 shown]
	v_ldexp_f64 v[58:59], v[52:53], 1
	v_mul_f64 v[52:53], v[52:53], v[56:57]
	v_mul_f64 v[52:53], v[52:53], v[62:63]
	v_add_f64 v[56:57], v[58:59], v[52:53]
	v_add_f64 v[58:59], v[56:57], -v[58:59]
	v_ldexp_f64 v[50:51], v[50:51], 1
	v_add_f64 v[52:53], v[52:53], -v[58:59]
	v_add_f64 v[50:51], v[50:51], v[52:53]
	v_add_f64 v[52:53], v[56:57], v[50:51]
	v_add_f64 v[56:57], v[52:53], -v[56:57]
	v_add_f64 v[50:51], v[50:51], -v[56:57]
	v_cvt_f64_i32_e32 v[56:57], v68
	v_mul_f64 v[58:59], v[56:57], s[68:69]
	v_fma_f64 v[62:63], v[56:57], s[68:69], -v[58:59]
	v_fmac_f64_e32 v[62:63], s[70:71], v[56:57]
	v_add_f64 v[56:57], v[58:59], v[62:63]
	v_add_f64 v[58:59], v[56:57], -v[58:59]
	v_add_f64 v[58:59], v[62:63], -v[58:59]
	v_add_f64 v[62:63], v[56:57], v[52:53]
	v_add_f64 v[64:65], v[62:63], -v[56:57]
	v_add_f64 v[66:67], v[62:63], -v[64:65]
	;; [unrolled: 1-line block ×4, first 2 shown]
	v_add_f64 v[52:53], v[52:53], v[56:57]
	v_add_f64 v[56:57], v[58:59], v[50:51]
	v_add_f64 v[64:65], v[56:57], -v[58:59]
	v_add_f64 v[66:67], v[56:57], -v[64:65]
	v_add_f64 v[52:53], v[56:57], v[52:53]
	v_add_f64 v[58:59], v[58:59], -v[66:67]
	v_add_f64 v[50:51], v[50:51], -v[64:65]
	v_add_f64 v[56:57], v[62:63], v[52:53]
	v_add_f64 v[50:51], v[50:51], v[58:59]
	v_add_f64 v[58:59], v[56:57], -v[62:63]
	v_add_f64 v[52:53], v[52:53], -v[58:59]
	v_add_f64 v[50:51], v[50:51], v[52:53]
	v_add_f64 v[50:51], v[56:57], v[50:51]
	v_cmp_class_f64_e64 s[6:7], v[48:49], s86
	v_mov_b32_e32 v52, 0x7ff80000
	s_nop 0
	v_cndmask_b32_e64 v50, v50, v48, s[6:7]
	v_cndmask_b32_e64 v51, v51, v49, s[6:7]
	v_cmp_ngt_f64_e64 s[6:7], 0, v[48:49]
	s_nop 1
	v_cndmask_b32_e64 v51, v52, v51, s[6:7]
	v_cmp_nge_f64_e64 s[6:7], 0, v[48:49]
	s_nop 1
	v_cndmask_b32_e64 v50, 0, v50, s[6:7]
	v_cmp_neq_f64_e64 s[6:7], 0, v[48:49]
	s_nop 1
	v_cndmask_b32_e64 v51, v55, v51, s[6:7]
	v_add_f64 v[46:47], v[46:47], v[50:51]
	s_waitcnt vmcnt(0)
	v_add_f64 v[46:47], v[60:61], v[46:47]
.LBB8_41:                               ;   in Loop: Header=BB8_29 Depth=2
	s_or_b64 exec, exec, s[82:83]
	s_and_saveexec_b64 s[6:7], s[80:81]
	s_cbranch_execz .LBB8_28
; %bb.42:                               ;   in Loop: Header=BB8_29 Depth=2
	v_lshl_add_u64 v[48:49], v[44:45], 0, v[12:13]
	global_store_dwordx2 v[48:49], v[46:47], off
	s_branch .LBB8_28
.LBB8_43:
	s_endpgm
.LBB8_44:
                                        ; implicit-def: $sgpr36_sgpr37
	s_branch .LBB8_4
	.section	.rodata,"a",@progbits
	.p2align	6, 0x0
	.amdhsa_kernel _ZN2at6native12_GLOBAL__N_137ctc_loss_backward_log_beta_gpu_kernelIdiEEvPT_PKS3_PKllPKT0_S8_lllllllS8_lll
		.amdhsa_group_segment_fixed_size 0
		.amdhsa_private_segment_fixed_size 0
		.amdhsa_kernarg_size 392
		.amdhsa_user_sgpr_count 2
		.amdhsa_user_sgpr_dispatch_ptr 0
		.amdhsa_user_sgpr_queue_ptr 0
		.amdhsa_user_sgpr_kernarg_segment_ptr 1
		.amdhsa_user_sgpr_dispatch_id 0
		.amdhsa_user_sgpr_kernarg_preload_length 0
		.amdhsa_user_sgpr_kernarg_preload_offset 0
		.amdhsa_user_sgpr_private_segment_size 0
		.amdhsa_uses_dynamic_stack 0
		.amdhsa_enable_private_segment 0
		.amdhsa_system_sgpr_workgroup_id_x 1
		.amdhsa_system_sgpr_workgroup_id_y 1
		.amdhsa_system_sgpr_workgroup_id_z 0
		.amdhsa_system_sgpr_workgroup_info 0
		.amdhsa_system_vgpr_workitem_id 1
		.amdhsa_next_free_vgpr 69
		.amdhsa_next_free_sgpr 87
		.amdhsa_accum_offset 72
		.amdhsa_reserve_vcc 1
		.amdhsa_float_round_mode_32 0
		.amdhsa_float_round_mode_16_64 0
		.amdhsa_float_denorm_mode_32 3
		.amdhsa_float_denorm_mode_16_64 3
		.amdhsa_dx10_clamp 1
		.amdhsa_ieee_mode 1
		.amdhsa_fp16_overflow 0
		.amdhsa_tg_split 0
		.amdhsa_exception_fp_ieee_invalid_op 0
		.amdhsa_exception_fp_denorm_src 0
		.amdhsa_exception_fp_ieee_div_zero 0
		.amdhsa_exception_fp_ieee_overflow 0
		.amdhsa_exception_fp_ieee_underflow 0
		.amdhsa_exception_fp_ieee_inexact 0
		.amdhsa_exception_int_div_zero 0
	.end_amdhsa_kernel
	.section	.text._ZN2at6native12_GLOBAL__N_137ctc_loss_backward_log_beta_gpu_kernelIdiEEvPT_PKS3_PKllPKT0_S8_lllllllS8_lll,"axG",@progbits,_ZN2at6native12_GLOBAL__N_137ctc_loss_backward_log_beta_gpu_kernelIdiEEvPT_PKS3_PKllPKT0_S8_lllllllS8_lll,comdat
.Lfunc_end8:
	.size	_ZN2at6native12_GLOBAL__N_137ctc_loss_backward_log_beta_gpu_kernelIdiEEvPT_PKS3_PKllPKT0_S8_lllllllS8_lll, .Lfunc_end8-_ZN2at6native12_GLOBAL__N_137ctc_loss_backward_log_beta_gpu_kernelIdiEEvPT_PKS3_PKllPKT0_S8_lllllllS8_lll
                                        ; -- End function
	.set _ZN2at6native12_GLOBAL__N_137ctc_loss_backward_log_beta_gpu_kernelIdiEEvPT_PKS3_PKllPKT0_S8_lllllllS8_lll.num_vgpr, 69
	.set _ZN2at6native12_GLOBAL__N_137ctc_loss_backward_log_beta_gpu_kernelIdiEEvPT_PKS3_PKllPKT0_S8_lllllllS8_lll.num_agpr, 0
	.set _ZN2at6native12_GLOBAL__N_137ctc_loss_backward_log_beta_gpu_kernelIdiEEvPT_PKS3_PKllPKT0_S8_lllllllS8_lll.numbered_sgpr, 87
	.set _ZN2at6native12_GLOBAL__N_137ctc_loss_backward_log_beta_gpu_kernelIdiEEvPT_PKS3_PKllPKT0_S8_lllllllS8_lll.num_named_barrier, 0
	.set _ZN2at6native12_GLOBAL__N_137ctc_loss_backward_log_beta_gpu_kernelIdiEEvPT_PKS3_PKllPKT0_S8_lllllllS8_lll.private_seg_size, 0
	.set _ZN2at6native12_GLOBAL__N_137ctc_loss_backward_log_beta_gpu_kernelIdiEEvPT_PKS3_PKllPKT0_S8_lllllllS8_lll.uses_vcc, 1
	.set _ZN2at6native12_GLOBAL__N_137ctc_loss_backward_log_beta_gpu_kernelIdiEEvPT_PKS3_PKllPKT0_S8_lllllllS8_lll.uses_flat_scratch, 0
	.set _ZN2at6native12_GLOBAL__N_137ctc_loss_backward_log_beta_gpu_kernelIdiEEvPT_PKS3_PKllPKT0_S8_lllllllS8_lll.has_dyn_sized_stack, 0
	.set _ZN2at6native12_GLOBAL__N_137ctc_loss_backward_log_beta_gpu_kernelIdiEEvPT_PKS3_PKllPKT0_S8_lllllllS8_lll.has_recursion, 0
	.set _ZN2at6native12_GLOBAL__N_137ctc_loss_backward_log_beta_gpu_kernelIdiEEvPT_PKS3_PKllPKT0_S8_lllllllS8_lll.has_indirect_call, 0
	.section	.AMDGPU.csdata,"",@progbits
; Kernel info:
; codeLenInByte = 4252
; TotalNumSgprs: 93
; NumVgprs: 69
; NumAgprs: 0
; TotalNumVgprs: 69
; ScratchSize: 0
; MemoryBound: 0
; FloatMode: 240
; IeeeMode: 1
; LDSByteSize: 0 bytes/workgroup (compile time only)
; SGPRBlocks: 11
; VGPRBlocks: 8
; NumSGPRsForWavesPerEU: 93
; NumVGPRsForWavesPerEU: 69
; AccumOffset: 72
; Occupancy: 7
; WaveLimiterHint : 1
; COMPUTE_PGM_RSRC2:SCRATCH_EN: 0
; COMPUTE_PGM_RSRC2:USER_SGPR: 2
; COMPUTE_PGM_RSRC2:TRAP_HANDLER: 0
; COMPUTE_PGM_RSRC2:TGID_X_EN: 1
; COMPUTE_PGM_RSRC2:TGID_Y_EN: 1
; COMPUTE_PGM_RSRC2:TGID_Z_EN: 0
; COMPUTE_PGM_RSRC2:TIDIG_COMP_CNT: 1
; COMPUTE_PGM_RSRC3_GFX90A:ACCUM_OFFSET: 17
; COMPUTE_PGM_RSRC3_GFX90A:TG_SPLIT: 0
	.section	.text._ZN2at6native12_GLOBAL__N_145ctc_loss_backward_collect_nonblank_gpu_kernelIdiEEvPT_PKS3_lS6_S6_S6_PKlPKT0_S8_S6_llllllllllllS8_llb,"axG",@progbits,_ZN2at6native12_GLOBAL__N_145ctc_loss_backward_collect_nonblank_gpu_kernelIdiEEvPT_PKS3_lS6_S6_S6_PKlPKT0_S8_S6_llllllllllllS8_llb,comdat
	.globl	_ZN2at6native12_GLOBAL__N_145ctc_loss_backward_collect_nonblank_gpu_kernelIdiEEvPT_PKS3_lS6_S6_S6_PKlPKT0_S8_S6_llllllllllllS8_llb ; -- Begin function _ZN2at6native12_GLOBAL__N_145ctc_loss_backward_collect_nonblank_gpu_kernelIdiEEvPT_PKS3_lS6_S6_S6_PKlPKT0_S8_S6_llllllllllllS8_llb
	.p2align	8
	.type	_ZN2at6native12_GLOBAL__N_145ctc_loss_backward_collect_nonblank_gpu_kernelIdiEEvPT_PKS3_lS6_S6_S6_PKlPKT0_S8_S6_llllllllllllS8_llb,@function
_ZN2at6native12_GLOBAL__N_145ctc_loss_backward_collect_nonblank_gpu_kernelIdiEEvPT_PKS3_lS6_S6_S6_PKlPKT0_S8_S6_llllllllllllS8_llb: ; @_ZN2at6native12_GLOBAL__N_145ctc_loss_backward_collect_nonblank_gpu_kernelIdiEEvPT_PKS3_lS6_S6_S6_PKlPKT0_S8_S6_llllllllllllS8_llb
; %bb.0:
	s_load_dword s4, s[0:1], 0xdc
	s_load_dwordx4 s[44:47], s[0:1], 0xb8
	v_bfe_u32 v1, v0, 10, 10
	v_mov_b32_e32 v5, 0
	s_waitcnt lgkmcnt(0)
	s_lshr_b32 s5, s4, 16
	s_mul_i32 s3, s3, s5
	v_add_u32_e32 v4, s3, v1
	v_cmp_gt_i64_e32 vcc, s[46:47], v[4:5]
	s_and_saveexec_b64 s[6:7], vcc
	s_cbranch_execz .LBB9_5
; %bb.1:
	s_load_dwordx2 s[6:7], s[0:1], 0x40
	v_and_b32_e32 v0, 0x3ff, v0
	v_mov_b32_e32 v1, v5
	s_and_b32 s3, s4, 0xffff
	v_mov_b32_e32 v6, s2
	s_waitcnt lgkmcnt(0)
	v_lshl_add_u64 v[2:3], v[4:5], 3, s[6:7]
	global_load_dwordx2 v[2:3], v[2:3], off
	v_mad_u64_u32 v[6:7], s[2:3], s3, v6, v[0:1]
	s_waitcnt vmcnt(0)
	v_cmp_lt_i64_e32 vcc, v[6:7], v[2:3]
	s_and_b64 exec, exec, vcc
	s_cbranch_execz .LBB9_5
; %bb.2:
	s_load_dwordx2 s[2:3], s[0:1], 0x48
	s_load_dword s6, s[0:1], 0xc8
	s_load_dwordx2 s[4:5], s[0:1], 0x30
	v_lshlrev_b64 v[2:3], 3, v[4:5]
	s_waitcnt lgkmcnt(0)
	v_lshl_add_u64 v[0:1], s[2:3], 0, v[2:3]
	global_load_dwordx2 v[0:1], v[0:1], off
	v_lshl_add_u64 v[2:3], s[4:5], 0, v[2:3]
	global_load_dwordx2 v[2:3], v[2:3], off
	s_mov_b32 s4, 0
	s_bitcmp1_b32 s6, 0
	s_mov_b32 s5, 0x7ff00000
	s_cselect_b64 s[6:7], -1, 0
	s_xor_b64 s[6:7], s[6:7], -1
	s_mov_b64 s[2:3], 0
	s_waitcnt vmcnt(1)
	v_cmp_neq_f64_e32 vcc, s[4:5], v[0:1]
	s_or_b64 s[4:5], s[6:7], vcc
	s_waitcnt vmcnt(0)
	v_cmp_lt_i64_e32 vcc, 0, v[2:3]
	s_and_b64 s[4:5], s[4:5], vcc
	s_and_b64 exec, exec, s[4:5]
	s_cbranch_execz .LBB9_5
; %bb.3:
	s_load_dwordx2 s[4:5], s[0:1], 0xb0
	v_mul_lo_u32 v12, v6, s45
	v_lshlrev_b64 v[26:27], 1, v[6:7]
	s_mov_b32 s34, 0x652b82fe
	s_mov_b32 s46, 0x3b39803f
	s_waitcnt lgkmcnt(0)
	v_lshl_add_u64 v[8:9], v[4:5], 3, s[4:5]
	global_load_dwordx2 v[8:9], v[8:9], off
	s_load_dwordx8 s[20:27], s[0:1], 0x0
	s_load_dwordx4 s[28:31], s[0:1], 0x20
	s_load_dwordx2 s[48:49], s[0:1], 0x38
	s_load_dwordx16 s[4:19], s[0:1], 0x50
	s_load_dwordx8 s[36:43], s[0:1], 0x90
	v_mul_lo_u32 v5, v7, s44
	v_mad_u64_u32 v[10:11], s[0:1], v6, s44, 0
	v_add3_u32 v11, v11, v12, v5
	v_or_b32_e32 v5, 1, v26
	s_waitcnt lgkmcnt(0)
	v_mad_u64_u32 v[28:29], s[0:1], s6, v4, 0
	v_mad_u64_u32 v[30:31], s[0:1], s12, v4, 0
	;; [unrolled: 1-line block ×4, first 2 shown]
	v_mul_lo_u32 v41, v27, s36
	v_mul_lo_u32 v43, v5, s37
	v_mad_u64_u32 v[38:39], s[0:1], v5, s36, 0
	v_mul_lo_u32 v45, v27, s42
	v_mul_lo_u32 v47, v5, s43
	v_mad_u64_u32 v[26:27], s[0:1], v5, s42, 0
	v_mov_b32_e32 v40, v29
	v_mov_b32_e32 v42, v31
	;; [unrolled: 1-line block ×4, first 2 shown]
	v_add3_u32 v39, v39, v43, v41
	v_add3_u32 v27, v27, v47, v45
	v_mad_u64_u32 v[40:41], s[0:1], s7, v4, v[40:41]
	v_mad_u64_u32 v[42:43], s[0:1], s13, v4, v[42:43]
	;; [unrolled: 1-line block ×3, first 2 shown]
	v_mov_b32_e32 v29, v40
	v_mov_b32_e32 v35, v44
	v_lshl_add_u64 v[40:41], v[28:29], 3, s[20:21]
	v_mov_b32_e32 v31, v42
	s_mov_b32 s44, 0xfefa39ef
	v_lshl_add_u64 v[30:31], v[30:31], 3, s[30:31]
	s_mov_b32 s35, 0x3ff71547
	s_mov_b32 s45, 0xbfe62e42
	;; [unrolled: 1-line block ×3, first 2 shown]
	v_mov_b32_e32 v14, 0x14761f6e
	v_mov_b32_e32 v15, 0x3f2a01a0
	;; [unrolled: 1-line block ×13, first 2 shown]
	s_lshl_b64 s[36:37], s[40:41], 3
	s_lshl_b64 s[18:19], s[18:19], 3
	;; [unrolled: 1-line block ×4, first 2 shown]
	s_waitcnt vmcnt(0)
	v_lshl_add_u64 v[6:7], v[8:9], 2, s[48:49]
	v_lshl_add_u64 v[6:7], v[10:11], 2, v[6:7]
	v_mad_u64_u32 v[10:11], s[0:1], s24, v4, 0
	global_load_dword v33, v[6:7], off
	v_mov_b32_e32 v12, v11
	v_mad_u64_u32 v[12:13], s[0:1], s25, v4, v[12:13]
	v_mov_b32_e32 v11, v12
	v_lshl_add_u64 v[10:11], v[10:11], 3, s[22:23]
	global_load_dwordx2 v[10:11], v[10:11], off
	v_mad_u64_u32 v[4:5], s[0:1], s39, v4, v[46:47]
	v_mov_b32_e32 v37, v4
	v_lshl_add_u64 v[4:5], v[34:35], 3, s[26:27]
	v_lshl_add_u64 v[28:29], v[36:37], 3, s[28:29]
	;; [unrolled: 1-line block ×4, first 2 shown]
	s_mov_b32 s48, 0x6a5dcb37
	s_mov_b32 s22, 0
	;; [unrolled: 1-line block ×3, first 2 shown]
	v_mov_b32_e32 v6, 0xfca7ab0c
	v_mov_b32_e32 v7, 0x3e928af3
	s_mov_b32 s49, 0x3e5ade15
	v_mov_b32_e32 v8, 0x623fde64
	v_mov_b32_e32 v9, 0x3ec71dee
	;; [unrolled: 1-line block ×4, first 2 shown]
	s_mov_b32 s23, 0x40900000
	s_mov_b32 s25, 0xc090cc00
	s_waitcnt vmcnt(1)
	v_ashrrev_i32_e32 v36, 31, v33
	v_mul_lo_u32 v37, s15, v33
	v_mad_u64_u32 v[28:29], s[0:1], s14, v33, 0
	v_mul_lo_u32 v38, s9, v33
	v_mad_u64_u32 v[34:35], s[0:1], s8, v33, 0
	v_mul_lo_u32 v33, s14, v36
	v_mul_lo_u32 v36, s8, v36
	v_add3_u32 v29, v29, v33, v37
	v_add3_u32 v35, v35, v36, v38
	v_lshl_add_u64 v[28:29], v[28:29], 3, v[30:31]
	v_lshl_add_u64 v[30:31], v[34:35], 3, v[40:41]
	v_bfrev_b32_e32 v33, 1
.LBB9_4:                                ; =>This Inner Loop Header: Depth=1
	global_load_dwordx2 v[34:35], v[4:5], off
	global_load_dwordx2 v[36:37], v[26:27], off
	;; [unrolled: 1-line block ×3, first 2 shown]
	v_lshl_add_u64 v[2:3], v[2:3], 0, -1
	v_lshl_add_u64 v[26:27], v[26:27], 0, s[36:37]
	v_lshl_add_u64 v[4:5], v[4:5], 0, s[18:19]
	;; [unrolled: 1-line block ×3, first 2 shown]
	s_waitcnt vmcnt(1)
	v_add_f64 v[34:35], v[34:35], v[36:37]
	v_add_f64 v[34:35], v[0:1], v[34:35]
	s_waitcnt vmcnt(0)
	v_add_f64 v[34:35], v[34:35], -v[38:39]
	v_mul_f64 v[36:37], v[34:35], s[34:35]
	v_rndne_f64_e32 v[36:37], v[36:37]
	v_fma_f64 v[38:39], s[44:45], v[36:37], v[34:35]
	v_fmac_f64_e32 v[38:39], s[46:47], v[36:37]
	v_cvt_i32_f64_e32 v40, v[36:37]
	v_fma_f64 v[36:37], s[48:49], v[38:39], v[6:7]
	v_fma_f64 v[36:37], v[38:39], v[36:37], v[8:9]
	;; [unrolled: 1-line block ×9, first 2 shown]
	v_fma_f64 v[36:37], v[38:39], v[36:37], 1.0
	v_fma_f64 v[36:37], v[38:39], v[36:37], 1.0
	v_ldexp_f64 v[36:37], -v[36:37], v40
	v_cmp_nlt_f64_e32 vcc, s[22:23], v[34:35]
	v_cmp_ngt_f64_e64 s[0:1], s[24:25], v[34:35]
	s_nop 0
	v_cndmask_b32_e32 v37, v32, v37, vcc
	s_and_b64 vcc, s[0:1], vcc
	v_cndmask_b32_e64 v35, v33, v37, s[0:1]
	v_cndmask_b32_e32 v34, 0, v36, vcc
	v_mul_f64 v[34:35], v[10:11], v[34:35]
	global_atomic_add_f64 v[30:31], v[34:35], off
	v_cmp_eq_u64_e32 vcc, 0, v[2:3]
	s_or_b64 s[2:3], vcc, s[2:3]
	v_lshl_add_u64 v[30:31], v[30:31], 0, s[4:5]
	s_andn2_b64 exec, exec, s[2:3]
	s_cbranch_execnz .LBB9_4
.LBB9_5:
	s_endpgm
	.section	.rodata,"a",@progbits
	.p2align	6, 0x0
	.amdhsa_kernel _ZN2at6native12_GLOBAL__N_145ctc_loss_backward_collect_nonblank_gpu_kernelIdiEEvPT_PKS3_lS6_S6_S6_PKlPKT0_S8_S6_llllllllllllS8_llb
		.amdhsa_group_segment_fixed_size 0
		.amdhsa_private_segment_fixed_size 0
		.amdhsa_kernarg_size 464
		.amdhsa_user_sgpr_count 2
		.amdhsa_user_sgpr_dispatch_ptr 0
		.amdhsa_user_sgpr_queue_ptr 0
		.amdhsa_user_sgpr_kernarg_segment_ptr 1
		.amdhsa_user_sgpr_dispatch_id 0
		.amdhsa_user_sgpr_kernarg_preload_length 0
		.amdhsa_user_sgpr_kernarg_preload_offset 0
		.amdhsa_user_sgpr_private_segment_size 0
		.amdhsa_uses_dynamic_stack 0
		.amdhsa_enable_private_segment 0
		.amdhsa_system_sgpr_workgroup_id_x 1
		.amdhsa_system_sgpr_workgroup_id_y 1
		.amdhsa_system_sgpr_workgroup_id_z 0
		.amdhsa_system_sgpr_workgroup_info 0
		.amdhsa_system_vgpr_workitem_id 1
		.amdhsa_next_free_vgpr 48
		.amdhsa_next_free_sgpr 50
		.amdhsa_accum_offset 48
		.amdhsa_reserve_vcc 1
		.amdhsa_float_round_mode_32 0
		.amdhsa_float_round_mode_16_64 0
		.amdhsa_float_denorm_mode_32 3
		.amdhsa_float_denorm_mode_16_64 3
		.amdhsa_dx10_clamp 1
		.amdhsa_ieee_mode 1
		.amdhsa_fp16_overflow 0
		.amdhsa_tg_split 0
		.amdhsa_exception_fp_ieee_invalid_op 0
		.amdhsa_exception_fp_denorm_src 0
		.amdhsa_exception_fp_ieee_div_zero 0
		.amdhsa_exception_fp_ieee_overflow 0
		.amdhsa_exception_fp_ieee_underflow 0
		.amdhsa_exception_fp_ieee_inexact 0
		.amdhsa_exception_int_div_zero 0
	.end_amdhsa_kernel
	.section	.text._ZN2at6native12_GLOBAL__N_145ctc_loss_backward_collect_nonblank_gpu_kernelIdiEEvPT_PKS3_lS6_S6_S6_PKlPKT0_S8_S6_llllllllllllS8_llb,"axG",@progbits,_ZN2at6native12_GLOBAL__N_145ctc_loss_backward_collect_nonblank_gpu_kernelIdiEEvPT_PKS3_lS6_S6_S6_PKlPKT0_S8_S6_llllllllllllS8_llb,comdat
.Lfunc_end9:
	.size	_ZN2at6native12_GLOBAL__N_145ctc_loss_backward_collect_nonblank_gpu_kernelIdiEEvPT_PKS3_lS6_S6_S6_PKlPKT0_S8_S6_llllllllllllS8_llb, .Lfunc_end9-_ZN2at6native12_GLOBAL__N_145ctc_loss_backward_collect_nonblank_gpu_kernelIdiEEvPT_PKS3_lS6_S6_S6_PKlPKT0_S8_S6_llllllllllllS8_llb
                                        ; -- End function
	.set _ZN2at6native12_GLOBAL__N_145ctc_loss_backward_collect_nonblank_gpu_kernelIdiEEvPT_PKS3_lS6_S6_S6_PKlPKT0_S8_S6_llllllllllllS8_llb.num_vgpr, 48
	.set _ZN2at6native12_GLOBAL__N_145ctc_loss_backward_collect_nonblank_gpu_kernelIdiEEvPT_PKS3_lS6_S6_S6_PKlPKT0_S8_S6_llllllllllllS8_llb.num_agpr, 0
	.set _ZN2at6native12_GLOBAL__N_145ctc_loss_backward_collect_nonblank_gpu_kernelIdiEEvPT_PKS3_lS6_S6_S6_PKlPKT0_S8_S6_llllllllllllS8_llb.numbered_sgpr, 50
	.set _ZN2at6native12_GLOBAL__N_145ctc_loss_backward_collect_nonblank_gpu_kernelIdiEEvPT_PKS3_lS6_S6_S6_PKlPKT0_S8_S6_llllllllllllS8_llb.num_named_barrier, 0
	.set _ZN2at6native12_GLOBAL__N_145ctc_loss_backward_collect_nonblank_gpu_kernelIdiEEvPT_PKS3_lS6_S6_S6_PKlPKT0_S8_S6_llllllllllllS8_llb.private_seg_size, 0
	.set _ZN2at6native12_GLOBAL__N_145ctc_loss_backward_collect_nonblank_gpu_kernelIdiEEvPT_PKS3_lS6_S6_S6_PKlPKT0_S8_S6_llllllllllllS8_llb.uses_vcc, 1
	.set _ZN2at6native12_GLOBAL__N_145ctc_loss_backward_collect_nonblank_gpu_kernelIdiEEvPT_PKS3_lS6_S6_S6_PKlPKT0_S8_S6_llllllllllllS8_llb.uses_flat_scratch, 0
	.set _ZN2at6native12_GLOBAL__N_145ctc_loss_backward_collect_nonblank_gpu_kernelIdiEEvPT_PKS3_lS6_S6_S6_PKlPKT0_S8_S6_llllllllllllS8_llb.has_dyn_sized_stack, 0
	.set _ZN2at6native12_GLOBAL__N_145ctc_loss_backward_collect_nonblank_gpu_kernelIdiEEvPT_PKS3_lS6_S6_S6_PKlPKT0_S8_S6_llllllllllllS8_llb.has_recursion, 0
	.set _ZN2at6native12_GLOBAL__N_145ctc_loss_backward_collect_nonblank_gpu_kernelIdiEEvPT_PKS3_lS6_S6_S6_PKlPKT0_S8_S6_llllllllllllS8_llb.has_indirect_call, 0
	.section	.AMDGPU.csdata,"",@progbits
; Kernel info:
; codeLenInByte = 1288
; TotalNumSgprs: 56
; NumVgprs: 48
; NumAgprs: 0
; TotalNumVgprs: 48
; ScratchSize: 0
; MemoryBound: 0
; FloatMode: 240
; IeeeMode: 1
; LDSByteSize: 0 bytes/workgroup (compile time only)
; SGPRBlocks: 6
; VGPRBlocks: 5
; NumSGPRsForWavesPerEU: 56
; NumVGPRsForWavesPerEU: 48
; AccumOffset: 48
; Occupancy: 8
; WaveLimiterHint : 1
; COMPUTE_PGM_RSRC2:SCRATCH_EN: 0
; COMPUTE_PGM_RSRC2:USER_SGPR: 2
; COMPUTE_PGM_RSRC2:TRAP_HANDLER: 0
; COMPUTE_PGM_RSRC2:TGID_X_EN: 1
; COMPUTE_PGM_RSRC2:TGID_Y_EN: 1
; COMPUTE_PGM_RSRC2:TGID_Z_EN: 0
; COMPUTE_PGM_RSRC2:TIDIG_COMP_CNT: 1
; COMPUTE_PGM_RSRC3_GFX90A:ACCUM_OFFSET: 11
; COMPUTE_PGM_RSRC3_GFX90A:TG_SPLIT: 0
	.section	.text._ZN2at6native12_GLOBAL__N_136ctc_loss_backward_collect_gpu_kernelIdiEEvPT_PKS3_lS6_S6_S6_PKllPKT0_S8_lS6_llllllllllllS8_llllb,"axG",@progbits,_ZN2at6native12_GLOBAL__N_136ctc_loss_backward_collect_gpu_kernelIdiEEvPT_PKS3_lS6_S6_S6_PKllPKT0_S8_lS6_llllllllllllS8_llllb,comdat
	.globl	_ZN2at6native12_GLOBAL__N_136ctc_loss_backward_collect_gpu_kernelIdiEEvPT_PKS3_lS6_S6_S6_PKllPKT0_S8_lS6_llllllllllllS8_llllb ; -- Begin function _ZN2at6native12_GLOBAL__N_136ctc_loss_backward_collect_gpu_kernelIdiEEvPT_PKS3_lS6_S6_S6_PKllPKT0_S8_lS6_llllllllllllS8_llllb
	.p2align	8
	.type	_ZN2at6native12_GLOBAL__N_136ctc_loss_backward_collect_gpu_kernelIdiEEvPT_PKS3_lS6_S6_S6_PKllPKT0_S8_lS6_llllllllllllS8_llllb,@function
_ZN2at6native12_GLOBAL__N_136ctc_loss_backward_collect_gpu_kernelIdiEEvPT_PKS3_lS6_S6_S6_PKllPKT0_S8_lS6_llllllllllllS8_llllb: ; @_ZN2at6native12_GLOBAL__N_136ctc_loss_backward_collect_gpu_kernelIdiEEvPT_PKS3_lS6_S6_S6_PKllPKT0_S8_lS6_llllllllllllS8_llllb
; %bb.0:
	s_load_dword s6, s[0:1], 0xfc
	s_load_dwordx2 s[4:5], s[0:1], 0x38
	s_load_dwordx8 s[20:27], s[0:1], 0xc8
	v_bfe_u32 v1, v0, 10, 10
	v_mov_b32_e32 v3, 0
	s_waitcnt lgkmcnt(0)
	s_lshr_b32 s7, s6, 16
	s_mul_i32 s3, s3, s7
	v_add_u32_e32 v2, s3, v1
	v_and_b32_e32 v0, 0x3ff, v0
	v_mov_b32_e32 v1, v3
	s_and_b32 s3, s6, 0xffff
	v_mov_b32_e32 v4, s2
	v_mad_u64_u32 v[4:5], s[2:3], s3, v4, v[0:1]
	v_cmp_gt_i64_e32 vcc, s[4:5], v[4:5]
	v_cmp_gt_i64_e64 s[2:3], s[22:23], v[2:3]
	s_and_b64 s[2:3], vcc, s[2:3]
	s_and_saveexec_b64 s[4:5], s[2:3]
	s_cbranch_execz .LBB10_15
; %bb.1:
	s_load_dwordx2 s[4:5], s[0:1], 0x30
	s_load_dwordx2 s[2:3], s[0:1], 0x50
	s_waitcnt lgkmcnt(0)
	v_lshl_add_u64 v[0:1], v[2:3], 3, s[4:5]
	global_load_dwordx2 v[6:7], v[0:1], off
	s_load_dwordx16 s[4:19], s[0:1], 0x60
	s_load_dwordx2 s[22:23], s[0:1], 0x0
	s_waitcnt lgkmcnt(0)
	v_mad_u64_u32 v[0:1], s[28:29], s6, v2, 0
	v_mov_b32_e32 v8, v1
	v_mad_u64_u32 v[8:9], s[6:7], s7, v2, v[8:9]
	v_mov_b32_e32 v1, v8
	v_cmp_lt_i64_e64 s[28:29], s[2:3], 0
	s_mov_b64 s[6:7], 0
	s_and_b64 vcc, exec, s[28:29]
	v_mul_lo_u32 v38, v5, s4
	v_mul_lo_u32 v39, v4, s5
	v_lshl_add_u64 v[0:1], v[0:1], 3, s[22:23]
	s_cbranch_vccnz .LBB10_10
; %bb.2:
	s_load_dwordx2 s[22:23], s[0:1], 0xc0
	s_load_dwordx4 s[28:31], s[0:1], 0x40
	s_load_dwordx4 s[44:47], s[0:1], 0x18
	v_lshlrev_b64 v[8:9], 3, v[2:3]
	s_load_dwordx8 s[36:43], s[0:1], 0xa0
	s_waitcnt lgkmcnt(0)
	v_lshl_add_u64 v[10:11], s[22:23], 0, v[8:9]
	v_lshl_add_u64 v[8:9], s[30:31], 0, v[8:9]
	global_load_dwordx2 v[16:17], v[8:9], off
	global_load_dwordx2 v[18:19], v[10:11], off
	s_lshl_b64 s[22:23], s[2:3], 1
	v_mad_u64_u32 v[12:13], s[2:3], s16, v2, 0
	v_mul_lo_u32 v27, v5, s18
	v_mul_lo_u32 v28, v4, s19
	v_mad_u64_u32 v[14:15], s[2:3], v4, s18, 0
	v_mad_u64_u32 v[20:21], s[2:3], s38, v2, 0
	v_mov_b32_e32 v26, v13
	v_mov_b32_e32 v8, v21
	v_add3_u32 v15, v15, v28, v27
	v_mad_u64_u32 v[26:27], s[2:3], s17, v2, v[26:27]
	v_mad_u64_u32 v[24:25], s[2:3], s39, v2, v[8:9]
	v_mov_b32_e32 v13, v26
	v_mad_u64_u32 v[10:11], s[2:3], v4, s4, 0
	v_mul_lo_u32 v29, v5, s40
	v_mul_lo_u32 v30, v4, s41
	v_mad_u64_u32 v[22:23], s[2:3], v4, s40, 0
	v_lshl_add_u64 v[12:13], v[12:13], 3, s[44:45]
	v_mov_b32_e32 v21, v24
	s_mov_b32 s30, 0
	s_mov_b32 s34, 0x652b82fe
	;; [unrolled: 1-line block ×18, first 2 shown]
	v_add3_u32 v11, v11, v39, v38
	v_lshl_add_u64 v[12:13], v[14:15], 3, v[12:13]
	v_add3_u32 v23, v23, v30, v29
	v_lshl_add_u64 v[14:15], v[20:21], 3, s[46:47]
	s_mov_b32 s19, 0
	s_mov_b32 s31, 0xfff00000
	;; [unrolled: 1-line block ×19, first 2 shown]
	s_lshl_b64 s[36:37], s[36:37], 3
	s_lshl_b64 s[38:39], s[42:43], 3
	s_mov_b32 s41, 0x3fe62e42
	s_mov_b32 s43, 0x3c7abc9e
	s_movk_i32 s5, 0x204
	v_mov_b32_e32 v40, 0x7ff00000
	v_mov_b32_e32 v8, 0x6b47b09a
	;; [unrolled: 1-line block ×3, first 2 shown]
	v_lshl_add_u64 v[10:11], v[10:11], 3, v[0:1]
	v_lshl_add_u64 v[14:15], v[22:23], 3, v[14:15]
	v_mov_b32_e32 v20, 0xd7f4df2e
	v_mov_b32_e32 v21, 0x3fc7474d
	s_waitcnt vmcnt(1)
	v_lshlrev_b64 v[16:17], 1, v[16:17]
	s_waitcnt vmcnt(0)
	v_lshl_add_u64 v[18:19], v[18:19], 2, s[28:29]
	v_mov_b32_e32 v22, 0x16291751
	v_mov_b32_e32 v23, 0x3fcc71c0
	;; [unrolled: 1-line block ×10, first 2 shown]
	s_branch .LBB10_5
.LBB10_3:                               ;   in Loop: Header=BB10_5 Depth=1
	s_or_b64 exec, exec, s[28:29]
	global_store_dwordx2 v[30:31], v[34:35], off
.LBB10_4:                               ;   in Loop: Header=BB10_5 Depth=1
	s_or_b64 exec, exec, s[16:17]
	s_add_u32 s6, s6, 1
	s_addc_u32 s7, s7, 0
	v_mov_b64_e32 v[30:31], s[6:7]
	v_cmp_lt_i64_e32 vcc, s[22:23], v[30:31]
	v_lshl_add_u64 v[12:13], v[12:13], 0, s[36:37]
	v_lshl_add_u64 v[14:15], v[14:15], 0, s[38:39]
	s_cbranch_vccnz .LBB10_10
.LBB10_5:                               ; =>This Inner Loop Header: Depth=1
	v_cmp_le_i64_e32 vcc, s[6:7], v[16:17]
	s_and_saveexec_b64 s[16:17], vcc
	s_cbranch_execz .LBB10_4
; %bb.6:                                ;   in Loop: Header=BB10_5 Depth=1
	s_and_b32 s18, s6, 1
	s_cmp_eq_u64 s[18:19], 0
	v_mov_b64_e32 v[30:31], s[26:27]
	s_cbranch_scc1 .LBB10_8
; %bb.7:                                ;   in Loop: Header=BB10_5 Depth=1
	s_lshr_b64 s[2:3], s[6:7], 1
	s_lshr_b32 s3, s7, 1
	s_mul_i32 s3, s20, s3
	s_mul_hi_u32 s18, s20, s2
	s_add_i32 s3, s18, s3
	s_mul_i32 s18, s21, s2
	s_add_i32 s3, s3, s18
	s_mul_i32 s2, s20, s2
	v_lshl_add_u64 v[30:31], s[2:3], 2, v[18:19]
	global_load_dword v30, v[30:31], off
	s_waitcnt vmcnt(0)
	v_ashrrev_i32_e32 v31, 31, v30
.LBB10_8:                               ;   in Loop: Header=BB10_5 Depth=1
	v_mul_lo_u32 v36, v31, s8
	v_mul_lo_u32 v37, v30, s9
	v_mad_u64_u32 v[30:31], s[2:3], v30, s8, 0
	v_add3_u32 v31, v31, v37, v36
	v_lshl_add_u64 v[30:31], v[30:31], 3, v[10:11]
	global_load_dwordx2 v[32:33], v[12:13], off
	global_load_dwordx2 v[34:35], v[14:15], off
	global_load_dwordx2 v[36:37], v[30:31], off
	s_waitcnt vmcnt(1)
	v_add_f64 v[34:35], v[32:33], v[34:35]
	s_waitcnt vmcnt(0)
	v_cmp_neq_f64_e32 vcc, s[30:31], v[36:37]
	s_and_saveexec_b64 s[28:29], vcc
	s_cbranch_execz .LBB10_3
; %bb.9:                                ;   in Loop: Header=BB10_5 Depth=1
	v_cmp_gt_f64_e32 vcc, v[36:37], v[34:35]
	v_mov_b64_e32 v[48:49], s[52:53]
	s_mov_b32 s40, s48
	v_cndmask_b32_e32 v33, v35, v37, vcc
	v_cndmask_b32_e32 v32, v34, v36, vcc
	v_add_f64 v[36:37], v[36:37], -v[32:33]
	v_mul_f64 v[44:45], v[36:37], s[34:35]
	v_rndne_f64_e32 v[44:45], v[44:45]
	v_fma_f64 v[46:47], s[48:49], v[44:45], v[36:37]
	v_fmac_f64_e32 v[46:47], s[50:51], v[44:45]
	v_fma_f64 v[50:51], s[54:55], v[46:47], v[48:49]
	v_fma_f64 v[50:51], v[46:47], v[50:51], s[56:57]
	;; [unrolled: 1-line block ×9, first 2 shown]
	v_fma_f64 v[50:51], v[46:47], v[50:51], 1.0
	v_fma_f64 v[46:47], v[46:47], v[50:51], 1.0
	v_cvt_i32_f64_e32 v43, v[44:45]
	v_ldexp_f64 v[44:45], v[46:47], v43
	v_cmp_nlt_f64_e32 vcc, s[72:73], v[36:37]
	v_cmp_ngt_f64_e64 s[2:3], s[74:75], v[36:37]
	v_add_f64 v[34:35], v[34:35], -v[32:33]
	v_cndmask_b32_e32 v43, v40, v45, vcc
	s_and_b64 vcc, s[2:3], vcc
	v_cndmask_b32_e32 v36, 0, v44, vcc
	v_mul_f64 v[44:45], v[34:35], s[34:35]
	v_rndne_f64_e32 v[44:45], v[44:45]
	v_fma_f64 v[46:47], s[48:49], v[44:45], v[34:35]
	v_fmac_f64_e32 v[46:47], s[50:51], v[44:45]
	v_fmac_f64_e32 v[48:49], s[54:55], v[46:47]
	v_fma_f64 v[48:49], v[46:47], v[48:49], s[56:57]
	v_fma_f64 v[48:49], v[46:47], v[48:49], s[58:59]
	;; [unrolled: 1-line block ×8, first 2 shown]
	v_fma_f64 v[48:49], v[46:47], v[48:49], 1.0
	v_cndmask_b32_e64 v37, 0, v43, s[2:3]
	v_fma_f64 v[46:47], v[46:47], v[48:49], 1.0
	v_cvt_i32_f64_e32 v43, v[44:45]
	v_ldexp_f64 v[44:45], v[46:47], v43
	v_cmp_nlt_f64_e32 vcc, s[72:73], v[34:35]
	v_cmp_ngt_f64_e64 s[2:3], s[74:75], v[34:35]
	s_mov_b32 s42, s50
	v_cndmask_b32_e32 v43, v40, v45, vcc
	s_and_b64 vcc, s[2:3], vcc
	v_cndmask_b32_e64 v35, 0, v43, s[2:3]
	v_cndmask_b32_e32 v34, 0, v44, vcc
	v_add_f64 v[34:35], v[36:37], v[34:35]
	v_frexp_mant_f64_e32 v[36:37], v[34:35]
	v_cmp_gt_f64_e32 vcc, s[76:77], v[36:37]
	v_frexp_exp_i32_f64_e32 v43, v[34:35]
	s_nop 0
	v_cndmask_b32_e64 v44, 0, 1, vcc
	v_ldexp_f64 v[36:37], v[36:37], v44
	v_add_f64 v[44:45], v[36:37], 1.0
	v_rcp_f64_e32 v[46:47], v[44:45]
	v_add_f64 v[50:51], v[44:45], -1.0
	v_add_f64 v[48:49], v[36:37], -1.0
	v_add_f64 v[36:37], v[36:37], -v[50:51]
	v_fma_f64 v[50:51], -v[44:45], v[46:47], 1.0
	v_fmac_f64_e32 v[46:47], v[50:51], v[46:47]
	v_fma_f64 v[50:51], -v[44:45], v[46:47], 1.0
	v_fmac_f64_e32 v[46:47], v[50:51], v[46:47]
	v_mul_f64 v[50:51], v[48:49], v[46:47]
	v_mul_f64 v[52:53], v[44:45], v[50:51]
	v_fma_f64 v[44:45], v[50:51], v[44:45], -v[52:53]
	v_fmac_f64_e32 v[44:45], v[50:51], v[36:37]
	v_add_f64 v[36:37], v[52:53], v[44:45]
	v_add_f64 v[54:55], v[48:49], -v[36:37]
	v_add_f64 v[52:53], v[36:37], -v[52:53]
	;; [unrolled: 1-line block ×5, first 2 shown]
	v_add_f64 v[36:37], v[44:45], v[36:37]
	v_add_f64 v[36:37], v[54:55], v[36:37]
	v_mul_f64 v[36:37], v[46:47], v[36:37]
	v_add_f64 v[44:45], v[50:51], v[36:37]
	v_add_f64 v[46:47], v[44:45], -v[50:51]
	v_add_f64 v[36:37], v[36:37], -v[46:47]
	v_mul_f64 v[46:47], v[44:45], v[44:45]
	v_mov_b64_e32 v[48:49], v[8:9]
	v_fmac_f64_e32 v[48:49], s[78:79], v[46:47]
	v_mov_b64_e32 v[50:51], v[20:21]
	v_fmac_f64_e32 v[50:51], v[46:47], v[48:49]
	;; [unrolled: 2-line block ×6, first 2 shown]
	v_ldexp_f64 v[48:49], v[44:45], 1
	v_mul_f64 v[44:45], v[44:45], v[46:47]
	v_mul_f64 v[44:45], v[44:45], v[50:51]
	v_add_f64 v[46:47], v[48:49], v[44:45]
	v_add_f64 v[48:49], v[46:47], -v[48:49]
	v_ldexp_f64 v[36:37], v[36:37], 1
	v_add_f64 v[44:45], v[44:45], -v[48:49]
	v_add_f64 v[36:37], v[36:37], v[44:45]
	v_add_f64 v[44:45], v[46:47], v[36:37]
	v_subbrev_co_u32_e32 v43, vcc, 0, v43, vcc
	v_add_f64 v[46:47], v[44:45], -v[46:47]
	v_add_f64 v[36:37], v[36:37], -v[46:47]
	v_cvt_f64_i32_e32 v[46:47], v43
	v_mul_f64 v[48:49], v[46:47], s[40:41]
	v_fma_f64 v[50:51], v[46:47], s[40:41], -v[48:49]
	v_fmac_f64_e32 v[50:51], s[42:43], v[46:47]
	v_add_f64 v[46:47], v[48:49], v[50:51]
	v_add_f64 v[48:49], v[46:47], -v[48:49]
	v_add_f64 v[48:49], v[50:51], -v[48:49]
	v_add_f64 v[50:51], v[46:47], v[44:45]
	v_add_f64 v[52:53], v[50:51], -v[46:47]
	v_add_f64 v[54:55], v[50:51], -v[52:53]
	;; [unrolled: 1-line block ×4, first 2 shown]
	v_add_f64 v[44:45], v[44:45], v[46:47]
	v_add_f64 v[46:47], v[48:49], v[36:37]
	v_add_f64 v[52:53], v[46:47], -v[48:49]
	v_add_f64 v[54:55], v[46:47], -v[52:53]
	v_add_f64 v[44:45], v[46:47], v[44:45]
	v_add_f64 v[48:49], v[48:49], -v[54:55]
	v_add_f64 v[36:37], v[36:37], -v[52:53]
	v_add_f64 v[46:47], v[50:51], v[44:45]
	v_add_f64 v[36:37], v[36:37], v[48:49]
	v_add_f64 v[48:49], v[46:47], -v[50:51]
	v_add_f64 v[44:45], v[44:45], -v[48:49]
	v_add_f64 v[36:37], v[36:37], v[44:45]
	v_add_f64 v[36:37], v[46:47], v[36:37]
	v_cmp_class_f64_e64 vcc, v[34:35], s5
	s_nop 1
	v_cndmask_b32_e32 v36, v36, v34, vcc
	v_cndmask_b32_e32 v37, v37, v35, vcc
	v_cmp_ngt_f64_e32 vcc, 0, v[34:35]
	s_nop 1
	v_cndmask_b32_e32 v37, v41, v37, vcc
	v_cmp_nge_f64_e32 vcc, 0, v[34:35]
	s_nop 1
	v_cndmask_b32_e32 v36, 0, v36, vcc
	v_cmp_neq_f64_e32 vcc, 0, v[34:35]
	s_nop 1
	v_cndmask_b32_e32 v37, v42, v37, vcc
	v_add_f64 v[34:35], v[32:33], v[36:37]
	s_branch .LBB10_3
.LBB10_10:
	v_cmp_lt_i64_e64 s[2:3], s[24:25], 1
	s_and_b64 vcc, exec, s[2:3]
	s_cbranch_vccnz .LBB10_15
; %bb.11:
	s_load_dwordx2 s[2:3], s[0:1], 0x58
	s_load_dwordx4 s[16:19], s[0:1], 0x8
	s_load_dwordx2 s[40:41], s[0:1], 0x28
	s_load_dword s33, s[0:1], 0xe8
	v_mad_u64_u32 v[14:15], s[0:1], v4, s4, 0
	s_waitcnt lgkmcnt(0)
	v_mad_u64_u32 v[10:11], s[0:1], s18, v2, 0
	v_lshl_add_u64 v[8:9], v[2:3], 3, s[2:3]
	v_mov_b32_e32 v12, v11
	global_load_dwordx2 v[8:9], v[8:9], off
	v_mad_u64_u32 v[12:13], s[0:1], s19, v2, v[12:13]
	v_mov_b32_e32 v11, v12
	v_lshl_add_u64 v[10:11], v[10:11], 3, s[16:17]
	global_load_dwordx2 v[10:11], v[10:11], off
	v_mad_u64_u32 v[12:13], s[0:1], s12, v2, 0
	s_waitcnt vmcnt(2)
	v_cmp_lt_i64_e32 vcc, v[4:5], v[6:7]
	v_mul_lo_u32 v3, v5, s10
	v_mul_lo_u32 v7, v4, s11
	v_mad_u64_u32 v[4:5], s[2:3], v4, s10, 0
	v_mov_b32_e32 v6, v13
	v_add3_u32 v5, v5, v7, v3
	v_mad_u64_u32 v[2:3], s[12:13], s13, v2, v[6:7]
	s_mov_b32 s0, 0
	v_mov_b32_e32 v13, v2
	s_bitcmp1_b32 s33, 0
	s_mov_b32 s1, 0x7ff00000
	v_lshl_add_u64 v[2:3], v[12:13], 3, s[40:41]
	s_cselect_b64 s[40:41], -1, 0
	s_lshl_b64 s[12:13], s[14:15], 3
	s_xor_b64 s[14:15], s[40:41], -1
	s_mov_b32 s2, 0x652b82fe
	s_mov_b32 s4, 0xfefa39ef
	;; [unrolled: 1-line block ×14, first 2 shown]
	v_add3_u32 v15, v15, v39, v38
	s_mov_b32 s40, 0
	s_mov_b32 s3, 0x3ff71547
	;; [unrolled: 1-line block ×15, first 2 shown]
	v_lshl_add_u64 v[0:1], v[14:15], 3, v[0:1]
	v_lshl_add_u64 v[2:3], v[4:5], 3, v[2:3]
	s_lshl_b64 s[8:9], s[8:9], 3
	s_mov_b32 s41, 0xc090cc00
	v_mov_b32_e32 v6, 0x7ff00000
	s_waitcnt vmcnt(1)
	v_cmp_neq_f64_e64 s[0:1], s[0:1], v[8:9]
	s_or_b64 s[0:1], s[14:15], s[0:1]
	s_and_b64 s[14:15], vcc, s[0:1]
	s_branch .LBB10_13
.LBB10_12:                              ;   in Loop: Header=BB10_13 Depth=1
	s_or_b64 exec, exec, s[42:43]
	s_add_u32 s24, s24, -1
	s_addc_u32 s25, s25, -1
	global_store_dwordx2 v[0:1], v[4:5], off
	v_lshl_add_u64 v[2:3], v[2:3], 0, s[12:13]
	s_cmp_lg_u64 s[24:25], 0
	v_lshl_add_u64 v[0:1], v[0:1], 0, s[8:9]
	s_cbranch_scc0 .LBB10_15
.LBB10_13:                              ; =>This Inner Loop Header: Depth=1
	v_mov_b64_e32 v[4:5], 0
	s_and_saveexec_b64 s[42:43], s[14:15]
	s_cbranch_execz .LBB10_12
; %bb.14:                               ;   in Loop: Header=BB10_13 Depth=1
	global_load_dwordx2 v[4:5], v[2:3], off
	global_load_dwordx2 v[12:13], v[0:1], off
	v_mov_b64_e32 v[14:15], s[10:11]
	s_waitcnt vmcnt(1)
	v_mul_f64 v[16:17], v[4:5], s[2:3]
	s_waitcnt vmcnt(0)
	v_add_f64 v[12:13], v[8:9], v[12:13]
	v_rndne_f64_e32 v[16:17], v[16:17]
	v_add_f64 v[12:13], v[12:13], -v[4:5]
	v_fma_f64 v[18:19], s[4:5], v[16:17], v[4:5]
	v_mul_f64 v[20:21], v[12:13], s[2:3]
	v_cvt_i32_f64_e32 v7, v[16:17]
	v_fmac_f64_e32 v[18:19], s[6:7], v[16:17]
	v_rndne_f64_e32 v[16:17], v[20:21]
	v_fma_f64 v[20:21], s[16:17], v[18:19], v[14:15]
	v_fma_f64 v[22:23], s[4:5], v[16:17], v[12:13]
	;; [unrolled: 1-line block ×3, first 2 shown]
	v_fmac_f64_e32 v[22:23], s[6:7], v[16:17]
	v_cvt_i32_f64_e32 v24, v[16:17]
	v_fma_f64 v[16:17], v[18:19], v[20:21], s[20:21]
	v_fmac_f64_e32 v[14:15], s[16:17], v[22:23]
	v_fma_f64 v[16:17], v[18:19], v[16:17], s[22:23]
	v_fma_f64 v[14:15], v[22:23], v[14:15], s[18:19]
	;; [unrolled: 1-line block ×12, first 2 shown]
	v_fma_f64 v[16:17], v[18:19], v[16:17], 1.0
	v_fma_f64 v[14:15], v[22:23], v[14:15], s[34:35]
	v_fma_f64 v[16:17], v[18:19], v[16:17], 1.0
	v_fma_f64 v[14:15], v[22:23], v[14:15], s[36:37]
	v_ldexp_f64 v[16:17], v[16:17], v7
	v_fma_f64 v[14:15], v[22:23], v[14:15], 1.0
	v_cmp_nlt_f64_e32 vcc, s[38:39], v[4:5]
	v_cmp_ngt_f64_e64 s[0:1], s[40:41], v[4:5]
	v_fma_f64 v[14:15], v[22:23], v[14:15], 1.0
	v_cndmask_b32_e32 v7, v6, v17, vcc
	s_and_b64 vcc, s[0:1], vcc
	v_cndmask_b32_e64 v5, 0, v7, s[0:1]
	v_cndmask_b32_e32 v4, 0, v16, vcc
	v_ldexp_f64 v[14:15], v[14:15], v24
	v_cmp_nlt_f64_e32 vcc, s[38:39], v[12:13]
	v_cmp_ngt_f64_e64 s[0:1], s[40:41], v[12:13]
	s_nop 0
	v_cndmask_b32_e32 v7, v6, v15, vcc
	s_and_b64 vcc, s[0:1], vcc
	v_cndmask_b32_e64 v13, 0, v7, s[0:1]
	v_cndmask_b32_e32 v12, 0, v14, vcc
	v_add_f64 v[4:5], v[4:5], -v[12:13]
	v_mul_f64 v[4:5], v[10:11], v[4:5]
	s_branch .LBB10_12
.LBB10_15:
	s_endpgm
	.section	.rodata,"a",@progbits
	.p2align	6, 0x0
	.amdhsa_kernel _ZN2at6native12_GLOBAL__N_136ctc_loss_backward_collect_gpu_kernelIdiEEvPT_PKS3_lS6_S6_S6_PKllPKT0_S8_lS6_llllllllllllS8_llllb
		.amdhsa_group_segment_fixed_size 0
		.amdhsa_private_segment_fixed_size 0
		.amdhsa_kernarg_size 496
		.amdhsa_user_sgpr_count 2
		.amdhsa_user_sgpr_dispatch_ptr 0
		.amdhsa_user_sgpr_queue_ptr 0
		.amdhsa_user_sgpr_kernarg_segment_ptr 1
		.amdhsa_user_sgpr_dispatch_id 0
		.amdhsa_user_sgpr_kernarg_preload_length 0
		.amdhsa_user_sgpr_kernarg_preload_offset 0
		.amdhsa_user_sgpr_private_segment_size 0
		.amdhsa_uses_dynamic_stack 0
		.amdhsa_enable_private_segment 0
		.amdhsa_system_sgpr_workgroup_id_x 1
		.amdhsa_system_sgpr_workgroup_id_y 1
		.amdhsa_system_sgpr_workgroup_id_z 0
		.amdhsa_system_sgpr_workgroup_info 0
		.amdhsa_system_vgpr_workitem_id 1
		.amdhsa_next_free_vgpr 56
		.amdhsa_next_free_sgpr 80
		.amdhsa_accum_offset 56
		.amdhsa_reserve_vcc 1
		.amdhsa_float_round_mode_32 0
		.amdhsa_float_round_mode_16_64 0
		.amdhsa_float_denorm_mode_32 3
		.amdhsa_float_denorm_mode_16_64 3
		.amdhsa_dx10_clamp 1
		.amdhsa_ieee_mode 1
		.amdhsa_fp16_overflow 0
		.amdhsa_tg_split 0
		.amdhsa_exception_fp_ieee_invalid_op 0
		.amdhsa_exception_fp_denorm_src 0
		.amdhsa_exception_fp_ieee_div_zero 0
		.amdhsa_exception_fp_ieee_overflow 0
		.amdhsa_exception_fp_ieee_underflow 0
		.amdhsa_exception_fp_ieee_inexact 0
		.amdhsa_exception_int_div_zero 0
	.end_amdhsa_kernel
	.section	.text._ZN2at6native12_GLOBAL__N_136ctc_loss_backward_collect_gpu_kernelIdiEEvPT_PKS3_lS6_S6_S6_PKllPKT0_S8_lS6_llllllllllllS8_llllb,"axG",@progbits,_ZN2at6native12_GLOBAL__N_136ctc_loss_backward_collect_gpu_kernelIdiEEvPT_PKS3_lS6_S6_S6_PKllPKT0_S8_lS6_llllllllllllS8_llllb,comdat
.Lfunc_end10:
	.size	_ZN2at6native12_GLOBAL__N_136ctc_loss_backward_collect_gpu_kernelIdiEEvPT_PKS3_lS6_S6_S6_PKllPKT0_S8_lS6_llllllllllllS8_llllb, .Lfunc_end10-_ZN2at6native12_GLOBAL__N_136ctc_loss_backward_collect_gpu_kernelIdiEEvPT_PKS3_lS6_S6_S6_PKllPKT0_S8_lS6_llllllllllllS8_llllb
                                        ; -- End function
	.set _ZN2at6native12_GLOBAL__N_136ctc_loss_backward_collect_gpu_kernelIdiEEvPT_PKS3_lS6_S6_S6_PKllPKT0_S8_lS6_llllllllllllS8_llllb.num_vgpr, 56
	.set _ZN2at6native12_GLOBAL__N_136ctc_loss_backward_collect_gpu_kernelIdiEEvPT_PKS3_lS6_S6_S6_PKllPKT0_S8_lS6_llllllllllllS8_llllb.num_agpr, 0
	.set _ZN2at6native12_GLOBAL__N_136ctc_loss_backward_collect_gpu_kernelIdiEEvPT_PKS3_lS6_S6_S6_PKllPKT0_S8_lS6_llllllllllllS8_llllb.numbered_sgpr, 80
	.set _ZN2at6native12_GLOBAL__N_136ctc_loss_backward_collect_gpu_kernelIdiEEvPT_PKS3_lS6_S6_S6_PKllPKT0_S8_lS6_llllllllllllS8_llllb.num_named_barrier, 0
	.set _ZN2at6native12_GLOBAL__N_136ctc_loss_backward_collect_gpu_kernelIdiEEvPT_PKS3_lS6_S6_S6_PKllPKT0_S8_lS6_llllllllllllS8_llllb.private_seg_size, 0
	.set _ZN2at6native12_GLOBAL__N_136ctc_loss_backward_collect_gpu_kernelIdiEEvPT_PKS3_lS6_S6_S6_PKllPKT0_S8_lS6_llllllllllllS8_llllb.uses_vcc, 1
	.set _ZN2at6native12_GLOBAL__N_136ctc_loss_backward_collect_gpu_kernelIdiEEvPT_PKS3_lS6_S6_S6_PKllPKT0_S8_lS6_llllllllllllS8_llllb.uses_flat_scratch, 0
	.set _ZN2at6native12_GLOBAL__N_136ctc_loss_backward_collect_gpu_kernelIdiEEvPT_PKS3_lS6_S6_S6_PKllPKT0_S8_lS6_llllllllllllS8_llllb.has_dyn_sized_stack, 0
	.set _ZN2at6native12_GLOBAL__N_136ctc_loss_backward_collect_gpu_kernelIdiEEvPT_PKS3_lS6_S6_S6_PKllPKT0_S8_lS6_llllllllllllS8_llllb.has_recursion, 0
	.set _ZN2at6native12_GLOBAL__N_136ctc_loss_backward_collect_gpu_kernelIdiEEvPT_PKS3_lS6_S6_S6_PKllPKT0_S8_lS6_llllllllllllS8_llllb.has_indirect_call, 0
	.section	.AMDGPU.csdata,"",@progbits
; Kernel info:
; codeLenInByte = 3080
; TotalNumSgprs: 86
; NumVgprs: 56
; NumAgprs: 0
; TotalNumVgprs: 56
; ScratchSize: 0
; MemoryBound: 0
; FloatMode: 240
; IeeeMode: 1
; LDSByteSize: 0 bytes/workgroup (compile time only)
; SGPRBlocks: 10
; VGPRBlocks: 6
; NumSGPRsForWavesPerEU: 86
; NumVGPRsForWavesPerEU: 56
; AccumOffset: 56
; Occupancy: 8
; WaveLimiterHint : 1
; COMPUTE_PGM_RSRC2:SCRATCH_EN: 0
; COMPUTE_PGM_RSRC2:USER_SGPR: 2
; COMPUTE_PGM_RSRC2:TRAP_HANDLER: 0
; COMPUTE_PGM_RSRC2:TGID_X_EN: 1
; COMPUTE_PGM_RSRC2:TGID_Y_EN: 1
; COMPUTE_PGM_RSRC2:TGID_Z_EN: 0
; COMPUTE_PGM_RSRC2:TIDIG_COMP_CNT: 1
; COMPUTE_PGM_RSRC3_GFX90A:ACCUM_OFFSET: 13
; COMPUTE_PGM_RSRC3_GFX90A:TG_SPLIT: 0
	.section	.text._ZN2at6native12_GLOBAL__N_137ctc_loss_backward_log_beta_gpu_kernelIflEEvPT_PKS3_PKllPKT0_S8_lllllllS8_lll,"axG",@progbits,_ZN2at6native12_GLOBAL__N_137ctc_loss_backward_log_beta_gpu_kernelIflEEvPT_PKS3_PKllPKT0_S8_lllllllS8_lll,comdat
	.globl	_ZN2at6native12_GLOBAL__N_137ctc_loss_backward_log_beta_gpu_kernelIflEEvPT_PKS3_PKllPKT0_S8_lllllllS8_lll ; -- Begin function _ZN2at6native12_GLOBAL__N_137ctc_loss_backward_log_beta_gpu_kernelIflEEvPT_PKS3_PKllPKT0_S8_lllllllS8_lll
	.p2align	8
	.type	_ZN2at6native12_GLOBAL__N_137ctc_loss_backward_log_beta_gpu_kernelIflEEvPT_PKS3_PKllPKT0_S8_lllllllS8_lll,@function
_ZN2at6native12_GLOBAL__N_137ctc_loss_backward_log_beta_gpu_kernelIflEEvPT_PKS3_PKllPKT0_S8_lllllllS8_lll: ; @_ZN2at6native12_GLOBAL__N_137ctc_loss_backward_log_beta_gpu_kernelIflEEvPT_PKS3_PKllPKT0_S8_lllllllS8_lll
; %bb.0:
	s_load_dword s2, s[0:1], 0x94
	s_load_dwordx4 s[20:23], s[0:1], 0x70
	s_add_u32 s12, s0, 0x88
	s_addc_u32 s13, s1, 0
	v_bfe_u32 v1, v0, 10, 10
	s_waitcnt lgkmcnt(0)
	s_lshr_b32 s2, s2, 16
	s_mul_i32 s3, s3, s2
	v_add_u32_e32 v12, s3, v1
	v_mov_b32_e32 v13, 0
	v_cmp_gt_i64_e32 vcc, s[22:23], v[12:13]
	s_and_saveexec_b64 s[2:3], vcc
	s_cbranch_execz .LBB11_43
; %bb.1:
	s_load_dwordx2 s[2:3], s[0:1], 0x10
	s_waitcnt lgkmcnt(0)
	v_lshl_add_u64 v[2:3], v[12:13], 3, s[2:3]
	global_load_dwordx2 v[2:3], v[2:3], off
	s_waitcnt vmcnt(0)
	v_cmp_ne_u64_e32 vcc, 0, v[2:3]
	s_and_b64 exec, exec, vcc
	s_cbranch_execz .LBB11_43
; %bb.2:
	s_load_dwordx2 s[2:3], s[0:1], 0x28
	s_load_dwordx2 s[4:5], s[0:1], 0x68
	v_lshlrev_b64 v[4:5], 3, v[12:13]
	s_waitcnt lgkmcnt(0)
	v_lshl_add_u64 v[6:7], s[2:3], 0, v[4:5]
	v_lshl_add_u64 v[4:5], s[4:5], 0, v[4:5]
	global_load_dwordx2 v[14:15], v[6:7], off
	global_load_dwordx2 v[8:9], v[4:5], off
	s_load_dwordx8 s[4:11], s[0:1], 0x30
	s_load_dword s2, s[12:13], 0xc
	s_waitcnt lgkmcnt(0)
	s_lshl_b64 s[22:23], s[4:5], 1
	s_and_b32 s33, s2, 0xffff
	s_mov_b32 s2, 0
	s_mov_b32 s3, s23
	s_cmp_lg_u64 s[2:3], 0
	s_cbranch_scc0 .LBB11_44
; %bb.3:
	s_add_u32 s2, s33, 0
	s_addc_u32 s3, 0, 0
	s_xor_b64 s[4:5], s[2:3], 0
	v_cvt_f32_u32_e32 v1, s4
	v_cvt_f32_u32_e32 v4, s5
	s_sub_u32 s14, 0, s4
	s_subb_u32 s15, 0, s5
	v_fmamk_f32 v1, v4, 0x4f800000, v1
	v_rcp_f32_e32 v1, v1
	s_nop 0
	v_mul_f32_e32 v1, 0x5f7ffffc, v1
	v_mul_f32_e32 v4, 0x2f800000, v1
	v_trunc_f32_e32 v4, v4
	v_fmamk_f32 v1, v4, 0xcf800000, v1
	v_cvt_u32_f32_e32 v4, v4
	v_cvt_u32_f32_e32 v1, v1
	v_readfirstlane_b32 s16, v4
	v_readfirstlane_b32 s12, v1
	s_mul_i32 s13, s14, s16
	s_mul_hi_u32 s18, s14, s12
	s_mul_i32 s17, s15, s12
	s_add_i32 s13, s18, s13
	s_add_i32 s13, s13, s17
	s_mul_i32 s19, s14, s12
	s_mul_i32 s18, s12, s13
	s_mul_hi_u32 s24, s12, s19
	s_mul_hi_u32 s17, s12, s13
	s_add_u32 s18, s24, s18
	s_addc_u32 s17, 0, s17
	s_mul_hi_u32 s25, s16, s19
	s_mul_i32 s19, s16, s19
	s_add_u32 s18, s18, s19
	s_mul_hi_u32 s24, s16, s13
	s_addc_u32 s17, s17, s25
	s_addc_u32 s18, s24, 0
	s_mul_i32 s13, s16, s13
	s_add_u32 s13, s17, s13
	s_addc_u32 s17, 0, s18
	s_add_u32 s18, s12, s13
	s_cselect_b64 s[12:13], -1, 0
	s_cmp_lg_u64 s[12:13], 0
	s_addc_u32 s16, s16, s17
	s_mul_i32 s12, s14, s16
	s_mul_hi_u32 s13, s14, s18
	s_add_i32 s12, s13, s12
	s_mul_i32 s15, s15, s18
	s_add_i32 s12, s12, s15
	s_mul_i32 s14, s14, s18
	s_mul_hi_u32 s15, s16, s14
	s_mul_i32 s17, s16, s14
	s_mul_i32 s24, s18, s12
	s_mul_hi_u32 s14, s18, s14
	s_mul_hi_u32 s19, s18, s12
	s_add_u32 s14, s14, s24
	s_addc_u32 s19, 0, s19
	s_add_u32 s14, s14, s17
	s_mul_hi_u32 s13, s16, s12
	s_addc_u32 s14, s19, s15
	s_addc_u32 s13, s13, 0
	s_mul_i32 s12, s16, s12
	s_add_u32 s12, s14, s12
	s_addc_u32 s14, 0, s13
	s_add_u32 s17, s18, s12
	s_cselect_b64 s[12:13], -1, 0
	s_cmp_lg_u64 s[12:13], 0
	s_addc_u32 s16, s16, s14
	s_ashr_i32 s12, s23, 31
	s_add_u32 s14, s22, s12
	s_mov_b32 s13, s12
	s_addc_u32 s15, s23, s12
	s_xor_b64 s[14:15], s[14:15], s[12:13]
	s_mul_i32 s19, s14, s16
	s_mul_hi_u32 s24, s14, s17
	s_mul_hi_u32 s18, s14, s16
	s_add_u32 s19, s24, s19
	s_addc_u32 s18, 0, s18
	s_mul_hi_u32 s25, s15, s17
	s_mul_i32 s17, s15, s17
	s_add_u32 s17, s19, s17
	s_mul_hi_u32 s24, s15, s16
	s_addc_u32 s17, s18, s25
	s_addc_u32 s18, s24, 0
	s_mul_i32 s16, s15, s16
	s_add_u32 s16, s17, s16
	s_addc_u32 s17, 0, s18
	s_mul_i32 s17, s4, s17
	s_mul_hi_u32 s18, s4, s16
	s_add_i32 s17, s18, s17
	s_mul_i32 s18, s5, s16
	s_add_i32 s24, s17, s18
	s_sub_i32 s18, s15, s24
	s_mul_i32 s16, s4, s16
	s_sub_u32 s14, s14, s16
	s_cselect_b64 s[16:17], -1, 0
	s_cmp_lg_u64 s[16:17], 0
	s_subb_u32 s25, s18, s5
	s_sub_u32 s26, s14, s4
	s_cselect_b64 s[18:19], -1, 0
	s_cmp_lg_u64 s[18:19], 0
	s_subb_u32 s27, s25, 0
	s_cmp_ge_u32 s27, s5
	s_cselect_b32 s28, -1, 0
	s_cmp_ge_u32 s26, s4
	s_cselect_b32 s29, -1, 0
	s_cmp_eq_u32 s27, s5
	s_cselect_b32 s28, s29, s28
	s_cmp_lg_u64 s[18:19], 0
	s_subb_u32 s25, s25, s5
	s_sub_u32 s29, s26, s4
	s_cselect_b64 s[18:19], -1, 0
	s_cmp_lg_u64 s[18:19], 0
	s_subb_u32 s18, s25, 0
	s_cmp_lg_u32 s28, 0
	s_cselect_b32 s19, s29, s26
	s_cselect_b32 s18, s18, s27
	s_cmp_lg_u64 s[16:17], 0
	s_subb_u32 s15, s15, s24
	s_cmp_ge_u32 s15, s5
	s_cselect_b32 s16, -1, 0
	s_cmp_ge_u32 s14, s4
	s_cselect_b32 s4, -1, 0
	s_cmp_eq_u32 s15, s5
	s_cselect_b32 s4, s4, s16
	s_cmp_lg_u32 s4, 0
	s_cselect_b32 s5, s18, s15
	s_cselect_b32 s4, s19, s14
	s_xor_b64 s[4:5], s[4:5], s[12:13]
	s_sub_u32 s36, s4, s12
	s_subb_u32 s37, s5, s12
	s_cbranch_execnz .LBB11_5
.LBB11_4:
	v_cvt_f32_u32_e32 v1, s33
	s_sub_i32 s2, 0, s33
	s_mov_b32 s37, 0
	v_rcp_iflag_f32_e32 v1, v1
	s_nop 0
	v_mul_f32_e32 v1, 0x4f7ffffe, v1
	v_cvt_u32_f32_e32 v1, v1
	s_nop 0
	v_readfirstlane_b32 s3, v1
	s_mul_i32 s2, s2, s3
	s_mul_hi_u32 s2, s3, s2
	s_add_i32 s3, s3, s2
	s_mul_hi_u32 s2, s22, s3
	s_mul_i32 s2, s2, s33
	s_sub_i32 s2, s22, s2
	s_sub_i32 s3, s2, s33
	s_cmp_ge_u32 s2, s33
	s_cselect_b32 s2, s3, s2
	s_sub_i32 s3, s2, s33
	s_cmp_ge_u32 s2, s33
	s_cselect_b32 s36, s3, s2
.LBB11_5:
	s_sub_u32 s28, s22, s36
	s_subb_u32 s29, s23, s37
	v_cmp_lt_i64_e64 s[2:3], s[28:29], 0
	s_and_b64 vcc, exec, s[2:3]
	s_cbranch_vccnz .LBB11_43
; %bb.6:
	s_load_dwordx2 s[30:31], s[0:1], 0x80
	s_load_dwordx8 s[12:19], s[0:1], 0x50
	s_load_dwordx4 s[24:27], s[0:1], 0x0
	s_load_dwordx2 s[2:3], s[0:1], 0x20
	v_mad_u64_u32 v[22:23], s[4:5], s8, v12, 0
	v_mov_b32_e32 v4, v23
	v_lshl_add_u64 v[10:11], v[2:3], 0, -1
	v_mad_u64_u32 v[4:5], s[4:5], s9, v12, v[4:5]
	s_waitcnt vmcnt(0) lgkmcnt(0)
	v_lshl_add_u64 v[8:9], v[8:9], 3, s[2:3]
	v_mad_u64_u32 v[16:17], s[2:3], v10, s6, 0
	v_mov_b32_e32 v23, v4
	v_lshlrev_b64 v[4:5], 1, v[14:15]
	v_mul_lo_u32 v13, v11, s6
	v_mul_lo_u32 v18, v10, s7
	s_mul_i32 s2, s30, s11
	s_mul_hi_u32 s3, s30, s10
	v_lshl_add_u64 v[6:7], v[4:5], 0, -1
	v_add3_u32 v17, v17, v18, v13
	v_lshl_add_u64 v[18:19], v[22:23], 2, s[26:27]
	s_add_i32 s2, s3, s2
	s_mul_i32 s3, s31, s10
	v_lshl_add_u64 v[16:17], v[16:17], 2, v[18:19]
	s_add_i32 s3, s2, s3
	s_mul_i32 s2, s30, s10
	v_alignbit_b32 v13, v7, v6, 1
	v_lshl_add_u64 v[26:27], s[2:3], 2, v[16:17]
	v_mul_lo_u32 v20, v13, s21
	v_mad_u64_u32 v[18:19], s[2:3], v13, s20, 0
	v_lshrrev_b32_e32 v13, 1, v7
	v_and_b32_e32 v0, 0x3ff, v0
	v_mov_b32_e32 v1, 0
	v_mul_lo_u32 v13, v13, s20
	v_add3_u32 v19, v19, v20, v13
	v_lshl_add_u64 v[20:21], s[22:23], 0, v[0:1]
	v_mov_b32_e32 v13, s37
	v_subrev_co_u32_e64 v24, s[4:5], s36, v20
	v_lshl_add_u64 v[28:29], v[18:19], 3, v[8:9]
	s_nop 0
	v_subb_co_u32_e64 v25, vcc, v21, v13, s[4:5]
	v_mul_lo_u32 v13, s17, v24
	v_mul_lo_u32 v20, s16, v25
	v_mad_u64_u32 v[18:19], s[2:3], s16, v24, 0
	v_add3_u32 v19, v19, v20, v13
	v_mul_lo_u32 v13, s15, v10
	v_mul_lo_u32 v20, s14, v11
	v_mad_u64_u32 v[30:31], s[2:3], s14, v10, 0
	v_mad_u64_u32 v[32:33], s[2:3], s12, v12, 0
	v_add3_u32 v31, v31, v20, v13
	v_mov_b32_e32 v20, v33
	v_mad_u64_u32 v[12:13], s[2:3], s13, v12, v[20:21]
	s_mul_i32 s2, s17, s33
	s_mul_hi_u32 s3, s16, s33
	v_lshlrev_b64 v[18:19], 2, v[18:19]
	v_mov_b32_e32 v33, v12
	s_add_i32 s3, s3, s2
	s_mul_i32 s2, s16, s33
	v_lshl_add_u64 v[30:31], v[30:31], 2, v[18:19]
	v_lshlrev_b64 v[12:13], 2, v[32:33]
	s_lshl_b64 s[2:3], s[2:3], 2
	v_sub_co_u32_e32 v32, vcc, v4, v0
	v_lshl_add_u64 v[30:31], v[30:31], 0, v[12:13]
	s_sub_u32 s8, 0, s2
	v_subbrev_co_u32_e32 v33, vcc, 0, v5, vcc
	v_lshl_add_u64 v[30:31], s[24:25], 0, v[30:31]
	s_subb_u32 s9, 0, s3
	v_lshl_add_u64 v[34:35], v[32:33], 0, -1
	s_mov_b64 s[2:3], s[28:29]
	s_branch .LBB11_8
.LBB11_7:                               ;   in Loop: Header=BB11_8 Depth=1
	s_or_b64 exec, exec, s[12:13]
	s_sub_u32 s2, s2, s33
	s_subb_u32 s3, s3, 0
	v_cmp_lt_i64_e64 s[12:13], s[2:3], 0
	v_lshl_add_u64 v[30:31], v[30:31], 0, s[8:9]
	s_and_b64 vcc, exec, s[12:13]
	s_cbranch_vccnz .LBB11_16
.LBB11_8:                               ; =>This Inner Loop Header: Depth=1
	v_cmp_ne_u64_e32 vcc, s[2:3], v[32:33]
                                        ; implicit-def: $vgpr20
	s_and_saveexec_b64 s[12:13], vcc
	s_xor_b64 s[12:13], exec, s[12:13]
	s_cbranch_execz .LBB11_12
; %bb.9:                                ;   in Loop: Header=BB11_8 Depth=1
	v_cmp_eq_u64_e32 vcc, s[2:3], v[34:35]
	s_waitcnt vmcnt(0)
	v_mov_b32_e32 v20, 0xff800000
	s_and_saveexec_b64 s[18:19], vcc
	s_cbranch_execz .LBB11_11
; %bb.10:                               ;   in Loop: Header=BB11_8 Depth=1
	global_load_dwordx2 v[36:37], v[28:29], off
	s_waitcnt vmcnt(0)
	v_mul_lo_u32 v20, v37, s10
	v_mul_lo_u32 v38, v36, s11
	v_mad_u64_u32 v[36:37], s[34:35], v36, s10, 0
	v_add3_u32 v37, v37, v38, v20
	v_lshl_add_u64 v[36:37], v[36:37], 2, v[16:17]
	global_load_dword v20, v[36:37], off
.LBB11_11:                              ;   in Loop: Header=BB11_8 Depth=1
	s_or_b64 exec, exec, s[18:19]
.LBB11_12:                              ;   in Loop: Header=BB11_8 Depth=1
	s_andn2_saveexec_b64 s[12:13], s[12:13]
	s_cbranch_execz .LBB11_14
; %bb.13:                               ;   in Loop: Header=BB11_8 Depth=1
	global_load_dword v20, v[26:27], off
.LBB11_14:                              ;   in Loop: Header=BB11_8 Depth=1
	s_or_b64 exec, exec, s[12:13]
	v_lshl_add_u64 v[36:37], v[0:1], 0, s[2:3]
	v_cmp_ge_i64_e32 vcc, s[22:23], v[36:37]
	s_and_saveexec_b64 s[12:13], vcc
	s_cbranch_execz .LBB11_7
; %bb.15:                               ;   in Loop: Header=BB11_8 Depth=1
	s_waitcnt vmcnt(0)
	global_store_dword v[30:31], v20, off
	s_branch .LBB11_7
.LBB11_16:
	s_load_dwordx2 s[38:39], s[0:1], 0x18
	v_cmp_lt_i64_e64 s[0:1], 0, v[14:15]
	v_cmp_ne_u64_e64 s[2:3], 0, v[14:15]
	v_lshl_add_u64 v[26:27], v[24:25], 2, 4
	s_waitcnt vmcnt(0)
	v_mul_lo_u32 v20, s16, v27
	s_waitcnt lgkmcnt(0)
	s_add_u32 s12, s38, -2
	s_addc_u32 s13, s39, -1
	s_mul_hi_u32 s34, s14, s12
	s_mul_i32 s35, s14, s13
	s_add_i32 s34, s34, s35
	s_mul_i32 s35, s15, s12
	s_add_i32 s35, s34, s35
	s_mul_i32 s34, s14, s12
	s_lshl_b64 s[34:35], s[34:35], 2
	s_add_u32 s34, s24, s34
	s_addc_u32 s35, s25, s35
	v_lshl_add_u64 v[14:15], s[34:35], 0, v[18:19]
	s_lshl_b64 s[34:35], s[14:15], 2
	s_sub_u32 s34, 0, s34
	s_subb_u32 s35, 0, s35
	s_add_u32 s36, s38, -1
	v_cmp_gt_i64_e64 s[18:19], s[38:39], 1
	s_addc_u32 s38, s39, -1
	s_mul_i32 s38, s14, s38
	s_mul_hi_u32 s39, s14, s36
	s_add_i32 s38, s39, s38
	s_mul_i32 s15, s15, s36
	s_add_i32 s15, s38, s15
	s_mul_i32 s14, s14, s36
	s_lshl_b64 s[14:15], s[14:15], 2
	s_add_u32 s14, s24, s14
	s_addc_u32 s15, s25, s15
	v_mov_b64_e32 v[16:17], s[14:15]
	v_mad_u64_u32 v[16:17], s[24:25], s16, v26, v[16:17]
	v_mul_lo_u32 v25, s17, v26
	v_add3_u32 v17, v25, v17, v20
	v_mov_b32_e32 v20, s37
	v_subb_co_u32_e64 v25, vcc, v21, v20, s[4:5]
	v_lshl_add_u64 v[20:21], v[24:25], 0, 2
	v_mul_lo_u32 v24, s17, v20
	v_mul_lo_u32 v25, s16, v21
	v_mad_u64_u32 v[20:21], s[4:5], s16, v20, 0
	s_mul_i32 s4, s6, s13
	s_mul_hi_u32 s5, s6, s12
	s_add_i32 s4, s5, s4
	s_mul_i32 s5, s7, s12
	s_add_i32 s5, s4, s5
	s_mul_i32 s4, s6, s12
	s_lshl_b64 s[4:5], s[4:5], 2
	s_add_u32 s4, s26, s4
	s_addc_u32 s5, s27, s5
	v_add3_u32 v21, v21, v25, v24
	v_lshl_add_u64 v[22:23], v[22:23], 2, s[4:5]
	s_lshl_b64 s[10:11], s[10:11], 2
	s_lshl_b64 s[4:5], s[6:7], 2
	v_lshl_add_u64 v[18:19], s[14:15], 0, v[18:19]
	v_lshl_add_u64 v[20:21], v[20:21], 2, s[14:15]
	s_sub_u32 s14, 0, s4
	s_subb_u32 s15, 0, s5
	s_mov_b32 s46, 0xff800000
	s_mov_b32 s47, 0x3fb8aa3b
	;; [unrolled: 1-line block ×7, first 2 shown]
	v_mov_b32_e32 v34, 0x7f800000
	v_mov_b32_e32 v35, 0x41b17218
	s_branch .LBB11_18
.LBB11_17:                              ;   in Loop: Header=BB11_18 Depth=1
	s_sub_u32 s28, s28, s33
	s_subb_u32 s29, s29, 0
	v_cmp_lt_i64_e64 s[4:5], s[28:29], 0
	v_lshl_add_u64 v[14:15], v[14:15], 0, s[8:9]
	v_lshl_add_u64 v[16:17], v[16:17], 0, s[8:9]
	;; [unrolled: 1-line block ×4, first 2 shown]
	s_and_b64 vcc, exec, s[4:5]
	s_cbranch_vccnz .LBB11_43
.LBB11_18:                              ; =>This Loop Header: Depth=1
                                        ;     Child Loop BB11_29 Depth 2
	v_lshl_add_u64 v[24:25], s[28:29], 0, v[0:1]
	v_cmp_le_i64_e64 s[6:7], v[24:25], v[4:5]
	s_and_b64 s[4:5], s[0:1], s[6:7]
	s_waitcnt vmcnt(0)
	v_mov_b64_e32 v[26:27], s[30:31]
	s_mov_b64 s[16:17], 0
	s_and_saveexec_b64 s[24:25], s[4:5]
	s_cbranch_execz .LBB11_26
; %bb.19:                               ;   in Loop: Header=BB11_18 Depth=1
	v_and_b32_e32 v26, 1, v24
	v_cmp_eq_u32_e32 vcc, 1, v26
	v_mov_b64_e32 v[26:27], s[30:31]
	s_and_saveexec_b64 s[4:5], vcc
	s_cbranch_execz .LBB11_21
; %bb.20:                               ;   in Loop: Header=BB11_18 Depth=1
	v_alignbit_b32 v26, v25, v24, 1
	v_lshrrev_b32_e32 v29, 1, v25
	v_mul_lo_u32 v28, v26, s21
	v_mad_u64_u32 v[26:27], s[16:17], v26, s20, 0
	v_mul_lo_u32 v29, v29, s20
	v_add3_u32 v27, v27, v28, v29
	v_lshl_add_u64 v[26:27], v[26:27], 3, v[8:9]
	global_load_dwordx2 v[26:27], v[26:27], off
.LBB11_21:                              ;   in Loop: Header=BB11_18 Depth=1
	s_or_b64 exec, exec, s[4:5]
	v_cmp_lt_i64_e64 s[4:5], v[24:25], v[6:7]
	s_mov_b64 s[26:27], 0
	s_and_saveexec_b64 s[16:17], s[4:5]
	s_cbranch_execz .LBB11_25
; %bb.22:                               ;   in Loop: Header=BB11_18 Depth=1
	v_mov_b64_e32 v[28:29], s[30:31]
	s_and_saveexec_b64 s[4:5], vcc
	s_cbranch_execz .LBB11_24
; %bb.23:                               ;   in Loop: Header=BB11_18 Depth=1
	v_lshl_add_u64 v[28:29], v[24:25], 0, 2
	v_alignbit_b32 v28, v29, v28, 1
	v_mul_lo_u32 v32, v28, s21
	v_mad_u64_u32 v[30:31], s[26:27], v28, s20, 0
	v_lshrrev_b32_e32 v28, 1, v29
	v_mul_lo_u32 v28, v28, s20
	v_add3_u32 v31, v31, v32, v28
	v_lshl_add_u64 v[28:29], v[30:31], 3, v[8:9]
	global_load_dwordx2 v[28:29], v[28:29], off
.LBB11_24:                              ;   in Loop: Header=BB11_18 Depth=1
	s_or_b64 exec, exec, s[4:5]
	s_waitcnt vmcnt(0)
	v_cmp_ne_u64_e32 vcc, v[28:29], v[26:27]
	s_and_b64 s[26:27], vcc, exec
.LBB11_25:                              ;   in Loop: Header=BB11_18 Depth=1
	s_or_b64 exec, exec, s[16:17]
	s_and_b64 s[16:17], s[26:27], exec
.LBB11_26:                              ;   in Loop: Header=BB11_18 Depth=1
	s_or_b64 exec, exec, s[24:25]
	s_andn2_b64 vcc, exec, s[18:19]
	s_cbranch_vccnz .LBB11_17
; %bb.27:                               ;   in Loop: Header=BB11_18 Depth=1
	v_cmp_gt_i64_e64 s[4:5], 1, v[24:25]
	v_cmp_lt_i64_e32 vcc, s[22:23], v[24:25]
	s_or_b64 s[24:25], s[2:3], s[4:5]
	v_cmp_lt_i64_e64 s[4:5], v[24:25], v[4:5]
	s_waitcnt vmcnt(0)
	v_mad_u64_u32 v[24:25], s[26:27], s10, v26, v[22:23]
	v_mul_lo_u32 v27, s10, v27
	v_mul_lo_u32 v26, s11, v26
	s_and_b64 s[24:25], s[24:25], s[6:7]
	v_add3_u32 v25, v26, v25, v27
	s_xor_b64 s[26:27], s[6:7], -1
	v_mov_b64_e32 v[26:27], v[20:21]
	v_mov_b64_e32 v[28:29], v[18:19]
	v_mov_b64_e32 v[30:31], v[16:17]
	v_mov_b64_e32 v[32:33], v[14:15]
	s_mov_b64 s[36:37], s[12:13]
	s_branch .LBB11_29
.LBB11_28:                              ;   in Loop: Header=BB11_29 Depth=2
	s_or_b64 exec, exec, s[6:7]
	s_add_u32 s36, s36, -1
	s_addc_u32 s37, s37, -1
	v_lshl_add_u64 v[32:33], v[32:33], 0, s[34:35]
	v_lshl_add_u64 v[30:31], v[30:31], 0, s[34:35]
	;; [unrolled: 1-line block ×4, first 2 shown]
	s_cmp_eq_u64 s[36:37], -1
	v_lshl_add_u64 v[24:25], v[24:25], 0, s[14:15]
	s_cbranch_scc1 .LBB11_17
.LBB11_29:                              ;   Parent Loop BB11_18 Depth=1
                                        ; =>  This Inner Loop Header: Depth=2
	v_cmp_ge_i64_e64 s[6:7], s[36:37], v[10:11]
	s_or_b64 s[6:7], s[26:27], s[6:7]
	s_mov_b64 s[38:39], 0
	s_barrier
	s_and_saveexec_b64 s[40:41], s[6:7]
	s_xor_b64 s[40:41], exec, s[40:41]
	s_cbranch_execnz .LBB11_32
; %bb.30:                               ;   in Loop: Header=BB11_29 Depth=2
	s_or_saveexec_b64 s[40:41], s[40:41]
	v_mov_b32_e32 v36, 0xff800000
	s_xor_b64 exec, exec, s[40:41]
	s_cbranch_execnz .LBB11_33
.LBB11_31:                              ;   in Loop: Header=BB11_29 Depth=2
	s_or_b64 exec, exec, s[40:41]
	s_and_saveexec_b64 s[6:7], s[38:39]
	s_cbranch_execz .LBB11_28
	s_branch .LBB11_42
.LBB11_32:                              ;   in Loop: Header=BB11_29 Depth=2
	v_cmp_lt_i64_e64 s[6:7], s[36:37], v[2:3]
	s_and_b64 s[6:7], s[6:7], s[24:25]
	s_nor_b64 s[6:7], vcc, s[6:7]
	s_and_b64 s[38:39], s[6:7], exec
	s_or_saveexec_b64 s[40:41], s[40:41]
	v_mov_b32_e32 v36, 0xff800000
	s_xor_b64 exec, exec, s[40:41]
	s_cbranch_execz .LBB11_31
.LBB11_33:                              ;   in Loop: Header=BB11_29 Depth=2
	v_lshl_add_u64 v[36:37], v[28:29], 0, v[12:13]
	global_load_dword v36, v[36:37], off
	v_mov_b32_e32 v37, 0xff800000
	v_mov_b32_e32 v38, 0xff800000
	s_waitcnt vmcnt(0)
	v_mov_b32_e32 v39, v36
	s_and_saveexec_b64 s[42:43], s[4:5]
	s_cbranch_execz .LBB11_37
; %bb.34:                               ;   in Loop: Header=BB11_29 Depth=2
	v_lshl_add_u64 v[38:39], v[30:31], 0, v[12:13]
	global_load_dword v38, v[38:39], off
	v_mov_b32_e32 v39, v36
	s_waitcnt vmcnt(0)
	v_cmp_gt_f32_e64 s[6:7], v38, v36
	s_and_saveexec_b64 s[44:45], s[6:7]
; %bb.35:                               ;   in Loop: Header=BB11_29 Depth=2
	v_mov_b32_e32 v39, v38
; %bb.36:                               ;   in Loop: Header=BB11_29 Depth=2
	s_or_b64 exec, exec, s[44:45]
.LBB11_37:                              ;   in Loop: Header=BB11_29 Depth=2
	s_or_b64 exec, exec, s[42:43]
	s_and_saveexec_b64 s[42:43], s[16:17]
	s_cbranch_execz .LBB11_41
; %bb.38:                               ;   in Loop: Header=BB11_29 Depth=2
	v_lshl_add_u64 v[40:41], v[26:27], 0, v[12:13]
	global_load_dword v37, v[40:41], off
	s_waitcnt vmcnt(0)
	v_cmp_gt_f32_e64 s[6:7], v37, v39
	s_and_saveexec_b64 s[44:45], s[6:7]
; %bb.39:                               ;   in Loop: Header=BB11_29 Depth=2
	v_mov_b32_e32 v39, v37
; %bb.40:                               ;   in Loop: Header=BB11_29 Depth=2
	s_or_b64 exec, exec, s[44:45]
.LBB11_41:                              ;   in Loop: Header=BB11_29 Depth=2
	s_or_b64 exec, exec, s[42:43]
	global_load_dword v40, v[24:25], off
	v_cmp_neq_f32_e64 s[6:7], s46, v39
	s_or_b64 s[38:39], s[38:39], exec
	s_nop 0
	v_cndmask_b32_e64 v39, 0, v39, s[6:7]
	v_sub_f32_e32 v36, v36, v39
	v_sub_f32_e32 v38, v38, v39
	v_mul_f32_e32 v41, 0x3fb8aa3b, v36
	v_sub_f32_e32 v37, v37, v39
	v_mul_f32_e32 v42, 0x3fb8aa3b, v38
	v_fma_f32 v44, v36, s47, -v41
	v_rndne_f32_e32 v45, v41
	v_mul_f32_e32 v43, 0x3fb8aa3b, v37
	v_fma_f32 v46, v38, s47, -v42
	v_rndne_f32_e32 v47, v42
	v_fmac_f32_e32 v44, 0x32a5705f, v36
	v_sub_f32_e32 v41, v41, v45
	v_fma_f32 v48, v37, s47, -v43
	v_rndne_f32_e32 v49, v43
	v_fmac_f32_e32 v46, 0x32a5705f, v38
	v_sub_f32_e32 v42, v42, v47
	v_add_f32_e32 v41, v41, v44
	v_cvt_i32_f32_e32 v45, v45
	v_fmac_f32_e32 v48, 0x32a5705f, v37
	v_sub_f32_e32 v43, v43, v49
	v_add_f32_e32 v42, v42, v46
	v_exp_f32_e32 v41, v41
	v_cvt_i32_f32_e32 v47, v47
	v_add_f32_e32 v43, v43, v48
	v_exp_f32_e32 v42, v42
	v_cvt_i32_f32_e32 v49, v49
	v_exp_f32_e32 v43, v43
	v_ldexp_f32 v41, v41, v45
	v_cmp_ngt_f32_e64 s[6:7], s48, v36
	v_ldexp_f32 v42, v42, v47
	v_ldexp_f32 v43, v43, v49
	v_cndmask_b32_e64 v41, 0, v41, s[6:7]
	v_cmp_ngt_f32_e64 s[6:7], s48, v38
	s_nop 1
	v_cndmask_b32_e64 v42, 0, v42, s[6:7]
	v_cmp_ngt_f32_e64 s[6:7], s48, v37
	s_nop 1
	v_cndmask_b32_e64 v43, 0, v43, s[6:7]
	v_cmp_nlt_f32_e64 s[6:7], s49, v36
	s_nop 1
	v_cndmask_b32_e64 v36, v34, v41, s[6:7]
	v_cmp_nlt_f32_e64 s[6:7], s49, v38
	;; [unrolled: 3-line block ×3, first 2 shown]
	v_add_f32_e32 v36, v36, v38
	s_nop 0
	v_cndmask_b32_e64 v37, v34, v43, s[6:7]
	v_add_f32_e32 v36, v37, v36
	v_cmp_gt_f32_e64 s[6:7], s51, v36
	s_nop 1
	v_cndmask_b32_e64 v37, 0, 32, s[6:7]
	v_ldexp_f32 v36, v36, v37
	v_log_f32_e32 v36, v36
	v_cndmask_b32_e64 v37, 0, v35, s[6:7]
	v_mul_f32_e32 v38, 0x3f317217, v36
	v_fma_f32 v38, v36, s52, -v38
	v_fmac_f32_e32 v38, 0x3377d1cf, v36
	v_fmac_f32_e32 v38, 0x3f317217, v36
	v_cmp_lt_f32_e64 s[6:7], |v36|, s50
	s_nop 1
	v_cndmask_b32_e64 v36, v36, v38, s[6:7]
	v_sub_f32_e32 v36, v36, v37
	v_add_f32_e32 v36, v39, v36
	s_waitcnt vmcnt(0)
	v_add_f32_e32 v36, v40, v36
	s_or_b64 exec, exec, s[40:41]
	s_and_saveexec_b64 s[6:7], s[38:39]
	s_cbranch_execz .LBB11_28
.LBB11_42:                              ;   in Loop: Header=BB11_29 Depth=2
	v_lshl_add_u64 v[38:39], v[32:33], 0, v[12:13]
	global_store_dword v[38:39], v36, off
	s_branch .LBB11_28
.LBB11_43:
	s_endpgm
.LBB11_44:
                                        ; implicit-def: $sgpr36_sgpr37
	s_branch .LBB11_4
	.section	.rodata,"a",@progbits
	.p2align	6, 0x0
	.amdhsa_kernel _ZN2at6native12_GLOBAL__N_137ctc_loss_backward_log_beta_gpu_kernelIflEEvPT_PKS3_PKllPKT0_S8_lllllllS8_lll
		.amdhsa_group_segment_fixed_size 0
		.amdhsa_private_segment_fixed_size 0
		.amdhsa_kernarg_size 392
		.amdhsa_user_sgpr_count 2
		.amdhsa_user_sgpr_dispatch_ptr 0
		.amdhsa_user_sgpr_queue_ptr 0
		.amdhsa_user_sgpr_kernarg_segment_ptr 1
		.amdhsa_user_sgpr_dispatch_id 0
		.amdhsa_user_sgpr_kernarg_preload_length 0
		.amdhsa_user_sgpr_kernarg_preload_offset 0
		.amdhsa_user_sgpr_private_segment_size 0
		.amdhsa_uses_dynamic_stack 0
		.amdhsa_enable_private_segment 0
		.amdhsa_system_sgpr_workgroup_id_x 1
		.amdhsa_system_sgpr_workgroup_id_y 1
		.amdhsa_system_sgpr_workgroup_id_z 0
		.amdhsa_system_sgpr_workgroup_info 0
		.amdhsa_system_vgpr_workitem_id 1
		.amdhsa_next_free_vgpr 50
		.amdhsa_next_free_sgpr 53
		.amdhsa_accum_offset 52
		.amdhsa_reserve_vcc 1
		.amdhsa_float_round_mode_32 0
		.amdhsa_float_round_mode_16_64 0
		.amdhsa_float_denorm_mode_32 3
		.amdhsa_float_denorm_mode_16_64 3
		.amdhsa_dx10_clamp 1
		.amdhsa_ieee_mode 1
		.amdhsa_fp16_overflow 0
		.amdhsa_tg_split 0
		.amdhsa_exception_fp_ieee_invalid_op 0
		.amdhsa_exception_fp_denorm_src 0
		.amdhsa_exception_fp_ieee_div_zero 0
		.amdhsa_exception_fp_ieee_overflow 0
		.amdhsa_exception_fp_ieee_underflow 0
		.amdhsa_exception_fp_ieee_inexact 0
		.amdhsa_exception_int_div_zero 0
	.end_amdhsa_kernel
	.section	.text._ZN2at6native12_GLOBAL__N_137ctc_loss_backward_log_beta_gpu_kernelIflEEvPT_PKS3_PKllPKT0_S8_lllllllS8_lll,"axG",@progbits,_ZN2at6native12_GLOBAL__N_137ctc_loss_backward_log_beta_gpu_kernelIflEEvPT_PKS3_PKllPKT0_S8_lllllllS8_lll,comdat
.Lfunc_end11:
	.size	_ZN2at6native12_GLOBAL__N_137ctc_loss_backward_log_beta_gpu_kernelIflEEvPT_PKS3_PKllPKT0_S8_lllllllS8_lll, .Lfunc_end11-_ZN2at6native12_GLOBAL__N_137ctc_loss_backward_log_beta_gpu_kernelIflEEvPT_PKS3_PKllPKT0_S8_lllllllS8_lll
                                        ; -- End function
	.set _ZN2at6native12_GLOBAL__N_137ctc_loss_backward_log_beta_gpu_kernelIflEEvPT_PKS3_PKllPKT0_S8_lllllllS8_lll.num_vgpr, 50
	.set _ZN2at6native12_GLOBAL__N_137ctc_loss_backward_log_beta_gpu_kernelIflEEvPT_PKS3_PKllPKT0_S8_lllllllS8_lll.num_agpr, 0
	.set _ZN2at6native12_GLOBAL__N_137ctc_loss_backward_log_beta_gpu_kernelIflEEvPT_PKS3_PKllPKT0_S8_lllllllS8_lll.numbered_sgpr, 53
	.set _ZN2at6native12_GLOBAL__N_137ctc_loss_backward_log_beta_gpu_kernelIflEEvPT_PKS3_PKllPKT0_S8_lllllllS8_lll.num_named_barrier, 0
	.set _ZN2at6native12_GLOBAL__N_137ctc_loss_backward_log_beta_gpu_kernelIflEEvPT_PKS3_PKllPKT0_S8_lllllllS8_lll.private_seg_size, 0
	.set _ZN2at6native12_GLOBAL__N_137ctc_loss_backward_log_beta_gpu_kernelIflEEvPT_PKS3_PKllPKT0_S8_lllllllS8_lll.uses_vcc, 1
	.set _ZN2at6native12_GLOBAL__N_137ctc_loss_backward_log_beta_gpu_kernelIflEEvPT_PKS3_PKllPKT0_S8_lllllllS8_lll.uses_flat_scratch, 0
	.set _ZN2at6native12_GLOBAL__N_137ctc_loss_backward_log_beta_gpu_kernelIflEEvPT_PKS3_PKllPKT0_S8_lllllllS8_lll.has_dyn_sized_stack, 0
	.set _ZN2at6native12_GLOBAL__N_137ctc_loss_backward_log_beta_gpu_kernelIflEEvPT_PKS3_PKllPKT0_S8_lllllllS8_lll.has_recursion, 0
	.set _ZN2at6native12_GLOBAL__N_137ctc_loss_backward_log_beta_gpu_kernelIflEEvPT_PKS3_PKllPKT0_S8_lllllllS8_lll.has_indirect_call, 0
	.section	.AMDGPU.csdata,"",@progbits
; Kernel info:
; codeLenInByte = 3104
; TotalNumSgprs: 59
; NumVgprs: 50
; NumAgprs: 0
; TotalNumVgprs: 50
; ScratchSize: 0
; MemoryBound: 0
; FloatMode: 240
; IeeeMode: 1
; LDSByteSize: 0 bytes/workgroup (compile time only)
; SGPRBlocks: 7
; VGPRBlocks: 6
; NumSGPRsForWavesPerEU: 59
; NumVGPRsForWavesPerEU: 50
; AccumOffset: 52
; Occupancy: 8
; WaveLimiterHint : 1
; COMPUTE_PGM_RSRC2:SCRATCH_EN: 0
; COMPUTE_PGM_RSRC2:USER_SGPR: 2
; COMPUTE_PGM_RSRC2:TRAP_HANDLER: 0
; COMPUTE_PGM_RSRC2:TGID_X_EN: 1
; COMPUTE_PGM_RSRC2:TGID_Y_EN: 1
; COMPUTE_PGM_RSRC2:TGID_Z_EN: 0
; COMPUTE_PGM_RSRC2:TIDIG_COMP_CNT: 1
; COMPUTE_PGM_RSRC3_GFX90A:ACCUM_OFFSET: 12
; COMPUTE_PGM_RSRC3_GFX90A:TG_SPLIT: 0
	.section	.text._ZN2at6native12_GLOBAL__N_145ctc_loss_backward_collect_nonblank_gpu_kernelIflEEvPT_PKS3_lS6_S6_S6_PKlPKT0_S8_S6_llllllllllllS8_llb,"axG",@progbits,_ZN2at6native12_GLOBAL__N_145ctc_loss_backward_collect_nonblank_gpu_kernelIflEEvPT_PKS3_lS6_S6_S6_PKlPKT0_S8_S6_llllllllllllS8_llb,comdat
	.globl	_ZN2at6native12_GLOBAL__N_145ctc_loss_backward_collect_nonblank_gpu_kernelIflEEvPT_PKS3_lS6_S6_S6_PKlPKT0_S8_S6_llllllllllllS8_llb ; -- Begin function _ZN2at6native12_GLOBAL__N_145ctc_loss_backward_collect_nonblank_gpu_kernelIflEEvPT_PKS3_lS6_S6_S6_PKlPKT0_S8_S6_llllllllllllS8_llb
	.p2align	8
	.type	_ZN2at6native12_GLOBAL__N_145ctc_loss_backward_collect_nonblank_gpu_kernelIflEEvPT_PKS3_lS6_S6_S6_PKlPKT0_S8_S6_llllllllllllS8_llb,@function
_ZN2at6native12_GLOBAL__N_145ctc_loss_backward_collect_nonblank_gpu_kernelIflEEvPT_PKS3_lS6_S6_S6_PKlPKT0_S8_S6_llllllllllllS8_llb: ; @_ZN2at6native12_GLOBAL__N_145ctc_loss_backward_collect_nonblank_gpu_kernelIflEEvPT_PKS3_lS6_S6_S6_PKlPKT0_S8_S6_llllllllllllS8_llb
; %bb.0:
	s_load_dword s8, s[0:1], 0xdc
	s_load_dwordx4 s[4:7], s[0:1], 0xb8
	v_bfe_u32 v1, v0, 10, 10
	v_mov_b32_e32 v3, 0
	s_waitcnt lgkmcnt(0)
	s_lshr_b32 s9, s8, 16
	s_mul_i32 s3, s3, s9
	v_add_u32_e32 v2, s3, v1
	v_cmp_gt_i64_e32 vcc, s[6:7], v[2:3]
	s_and_saveexec_b64 s[6:7], vcc
	s_cbranch_execz .LBB12_5
; %bb.1:
	s_load_dwordx2 s[6:7], s[0:1], 0x40
	v_and_b32_e32 v0, 0x3ff, v0
	v_mov_b32_e32 v1, v3
	s_and_b32 s3, s8, 0xffff
	s_waitcnt lgkmcnt(0)
	v_lshl_add_u64 v[4:5], v[2:3], 3, s[6:7]
	global_load_dwordx2 v[6:7], v[4:5], off
	v_mov_b32_e32 v4, s2
	v_mad_u64_u32 v[4:5], s[2:3], s3, v4, v[0:1]
	s_waitcnt vmcnt(0)
	v_cmp_lt_i64_e32 vcc, v[4:5], v[6:7]
	s_and_b64 exec, exec, vcc
	s_cbranch_execz .LBB12_5
; %bb.2:
	s_load_dwordx2 s[2:3], s[0:1], 0x48
	s_load_dword s8, s[0:1], 0xc8
	s_load_dwordx2 s[6:7], s[0:1], 0x30
	s_mov_b32 s9, 0x7f800000
	s_waitcnt lgkmcnt(0)
	v_lshl_add_u64 v[0:1], v[2:3], 2, s[2:3]
	global_load_dword v10, v[0:1], off
	v_lshl_add_u64 v[0:1], v[2:3], 3, s[6:7]
	global_load_dwordx2 v[0:1], v[0:1], off
	s_bitcmp1_b32 s8, 0
	s_cselect_b64 s[6:7], -1, 0
	s_xor_b64 s[6:7], s[6:7], -1
	s_mov_b64 s[2:3], 0
	s_waitcnt vmcnt(1)
	v_cmp_neq_f32_e32 vcc, s9, v10
	s_or_b64 s[6:7], s[6:7], vcc
	s_waitcnt vmcnt(0)
	v_cmp_lt_i64_e32 vcc, 0, v[0:1]
	s_and_b64 s[6:7], s[6:7], vcc
	s_and_b64 exec, exec, s[6:7]
	s_cbranch_execz .LBB12_5
; %bb.3:
	s_load_dwordx2 s[6:7], s[0:1], 0xb0
	s_load_dwordx8 s[20:27], s[0:1], 0x0
	v_mul_lo_u32 v11, v4, s5
	s_waitcnt lgkmcnt(0)
	v_lshl_add_u64 v[6:7], v[2:3], 3, s[6:7]
	global_load_dwordx2 v[6:7], v[6:7], off
	s_load_dwordx2 s[6:7], s[0:1], 0x38
	v_mul_lo_u32 v3, v5, s4
	v_mad_u64_u32 v[8:9], s[4:5], v4, s4, 0
	v_add3_u32 v9, v9, v11, v3
	v_lshlrev_b64 v[4:5], 1, v[4:5]
	v_or_b32_e32 v3, 1, v4
	s_waitcnt vmcnt(0) lgkmcnt(0)
	v_lshl_add_u64 v[6:7], v[6:7], 3, s[6:7]
	v_lshl_add_u64 v[6:7], v[8:9], 3, v[6:7]
	v_mad_u64_u32 v[8:9], s[4:5], s24, v2, 0
	v_mov_b32_e32 v12, v9
	global_load_dwordx2 v[6:7], v[6:7], off
	v_mad_u64_u32 v[12:13], s[4:5], s25, v2, v[12:13]
	v_mov_b32_e32 v9, v12
	v_lshl_add_u64 v[8:9], v[8:9], 2, s[22:23]
	global_load_dword v11, v[8:9], off
	s_load_dwordx4 s[28:31], s[0:1], 0x20
	s_load_dwordx16 s[4:19], s[0:1], 0x50
	s_load_dwordx8 s[36:43], s[0:1], 0x90
	s_mov_b32 s22, 0x3fb8aa3b
	s_mov_b32 s23, 0xc2ce8ed0
	;; [unrolled: 1-line block ×3, first 2 shown]
	s_waitcnt lgkmcnt(0)
	v_mad_u64_u32 v[8:9], s[0:1], s6, v2, 0
	v_mad_u64_u32 v[12:13], s[0:1], s12, v2, 0
	;; [unrolled: 1-line block ×4, first 2 shown]
	v_mul_lo_u32 v21, v5, s36
	v_mul_lo_u32 v23, v3, s37
	v_mad_u64_u32 v[18:19], s[0:1], v3, s36, 0
	v_mul_lo_u32 v25, v5, s42
	v_mul_lo_u32 v27, v3, s43
	v_mad_u64_u32 v[4:5], s[0:1], v3, s42, 0
	v_mov_b32_e32 v20, v9
	v_mov_b32_e32 v22, v13
	v_mov_b32_e32 v24, v15
	v_mov_b32_e32 v26, v17
	v_add3_u32 v19, v19, v23, v21
	v_add3_u32 v5, v5, v27, v25
	v_mad_u64_u32 v[20:21], s[6:7], s7, v2, v[20:21]
	v_mad_u64_u32 v[22:23], s[6:7], s13, v2, v[22:23]
	;; [unrolled: 1-line block ×4, first 2 shown]
	v_mov_b32_e32 v15, v24
	v_mov_b32_e32 v17, v2
	v_lshl_add_u64 v[2:3], v[14:15], 2, s[26:27]
	v_lshl_add_u64 v[14:15], v[16:17], 2, s[28:29]
	v_mov_b32_e32 v9, v20
	v_mov_b32_e32 v13, v22
	v_lshl_add_u64 v[2:3], v[18:19], 2, v[2:3]
	v_lshl_add_u64 v[4:5], v[4:5], 2, v[14:15]
	v_lshl_add_u64 v[12:13], v[12:13], 2, s[30:31]
	v_lshl_add_u64 v[8:9], v[8:9], 2, s[20:21]
	s_lshl_b64 s[0:1], s[40:41], 2
	s_lshl_b64 s[18:19], s[18:19], 2
	;; [unrolled: 1-line block ×4, first 2 shown]
	s_waitcnt vmcnt(1)
	v_mul_lo_u32 v18, v7, s14
	v_mul_lo_u32 v19, v6, s15
	v_mad_u64_u32 v[14:15], s[6:7], v6, s14, 0
	v_mul_lo_u32 v7, v7, s8
	v_mul_lo_u32 v20, v6, s9
	v_mad_u64_u32 v[16:17], s[6:7], v6, s8, 0
	v_add3_u32 v15, v15, v19, v18
	v_add3_u32 v17, v17, v20, v7
	v_lshl_add_u64 v[6:7], v[14:15], 2, v[12:13]
	v_lshl_add_u64 v[8:9], v[16:17], 2, v[8:9]
	v_mov_b32_e32 v12, 0x7f800000
.LBB12_4:                               ; =>This Inner Loop Header: Depth=1
	global_load_dword v13, v[2:3], off
	global_load_dword v14, v[4:5], off
	global_load_dword v15, v[6:7], off
	v_lshl_add_u64 v[0:1], v[0:1], 0, -1
	v_lshl_add_u64 v[4:5], v[4:5], 0, s[0:1]
	v_lshl_add_u64 v[2:3], v[2:3], 0, s[18:19]
	;; [unrolled: 1-line block ×3, first 2 shown]
	s_waitcnt vmcnt(1)
	v_add_f32_e32 v13, v13, v14
	v_add_f32_e32 v13, v10, v13
	s_waitcnt vmcnt(0)
	v_sub_f32_e32 v13, v13, v15
	v_mul_f32_e32 v14, 0x3fb8aa3b, v13
	v_fma_f32 v15, v13, s22, -v14
	v_rndne_f32_e32 v16, v14
	v_fmac_f32_e32 v15, 0x32a5705f, v13
	v_sub_f32_e32 v14, v14, v16
	v_add_f32_e32 v14, v14, v15
	v_cvt_i32_f32_e32 v16, v16
	v_exp_f32_e32 v14, v14
	v_cmp_ngt_f32_e32 vcc, s23, v13
	v_ldexp_f32 v14, v14, v16
	s_nop 0
	v_cndmask_b32_e32 v14, 0, v14, vcc
	v_cmp_nlt_f32_e32 vcc, s24, v13
	s_nop 1
	v_cndmask_b32_e32 v13, v12, v14, vcc
	v_mul_f32_e64 v13, v11, -v13
	global_atomic_add_f32 v[8:9], v13, off
	v_cmp_eq_u64_e32 vcc, 0, v[0:1]
	s_or_b64 s[2:3], vcc, s[2:3]
	v_lshl_add_u64 v[8:9], v[8:9], 0, s[4:5]
	s_andn2_b64 exec, exec, s[2:3]
	s_cbranch_execnz .LBB12_4
.LBB12_5:
	s_endpgm
	.section	.rodata,"a",@progbits
	.p2align	6, 0x0
	.amdhsa_kernel _ZN2at6native12_GLOBAL__N_145ctc_loss_backward_collect_nonblank_gpu_kernelIflEEvPT_PKS3_lS6_S6_S6_PKlPKT0_S8_S6_llllllllllllS8_llb
		.amdhsa_group_segment_fixed_size 0
		.amdhsa_private_segment_fixed_size 0
		.amdhsa_kernarg_size 464
		.amdhsa_user_sgpr_count 2
		.amdhsa_user_sgpr_dispatch_ptr 0
		.amdhsa_user_sgpr_queue_ptr 0
		.amdhsa_user_sgpr_kernarg_segment_ptr 1
		.amdhsa_user_sgpr_dispatch_id 0
		.amdhsa_user_sgpr_kernarg_preload_length 0
		.amdhsa_user_sgpr_kernarg_preload_offset 0
		.amdhsa_user_sgpr_private_segment_size 0
		.amdhsa_uses_dynamic_stack 0
		.amdhsa_enable_private_segment 0
		.amdhsa_system_sgpr_workgroup_id_x 1
		.amdhsa_system_sgpr_workgroup_id_y 1
		.amdhsa_system_sgpr_workgroup_id_z 0
		.amdhsa_system_sgpr_workgroup_info 0
		.amdhsa_system_vgpr_workitem_id 1
		.amdhsa_next_free_vgpr 28
		.amdhsa_next_free_sgpr 44
		.amdhsa_accum_offset 28
		.amdhsa_reserve_vcc 1
		.amdhsa_float_round_mode_32 0
		.amdhsa_float_round_mode_16_64 0
		.amdhsa_float_denorm_mode_32 3
		.amdhsa_float_denorm_mode_16_64 3
		.amdhsa_dx10_clamp 1
		.amdhsa_ieee_mode 1
		.amdhsa_fp16_overflow 0
		.amdhsa_tg_split 0
		.amdhsa_exception_fp_ieee_invalid_op 0
		.amdhsa_exception_fp_denorm_src 0
		.amdhsa_exception_fp_ieee_div_zero 0
		.amdhsa_exception_fp_ieee_overflow 0
		.amdhsa_exception_fp_ieee_underflow 0
		.amdhsa_exception_fp_ieee_inexact 0
		.amdhsa_exception_int_div_zero 0
	.end_amdhsa_kernel
	.section	.text._ZN2at6native12_GLOBAL__N_145ctc_loss_backward_collect_nonblank_gpu_kernelIflEEvPT_PKS3_lS6_S6_S6_PKlPKT0_S8_S6_llllllllllllS8_llb,"axG",@progbits,_ZN2at6native12_GLOBAL__N_145ctc_loss_backward_collect_nonblank_gpu_kernelIflEEvPT_PKS3_lS6_S6_S6_PKlPKT0_S8_S6_llllllllllllS8_llb,comdat
.Lfunc_end12:
	.size	_ZN2at6native12_GLOBAL__N_145ctc_loss_backward_collect_nonblank_gpu_kernelIflEEvPT_PKS3_lS6_S6_S6_PKlPKT0_S8_S6_llllllllllllS8_llb, .Lfunc_end12-_ZN2at6native12_GLOBAL__N_145ctc_loss_backward_collect_nonblank_gpu_kernelIflEEvPT_PKS3_lS6_S6_S6_PKlPKT0_S8_S6_llllllllllllS8_llb
                                        ; -- End function
	.set _ZN2at6native12_GLOBAL__N_145ctc_loss_backward_collect_nonblank_gpu_kernelIflEEvPT_PKS3_lS6_S6_S6_PKlPKT0_S8_S6_llllllllllllS8_llb.num_vgpr, 28
	.set _ZN2at6native12_GLOBAL__N_145ctc_loss_backward_collect_nonblank_gpu_kernelIflEEvPT_PKS3_lS6_S6_S6_PKlPKT0_S8_S6_llllllllllllS8_llb.num_agpr, 0
	.set _ZN2at6native12_GLOBAL__N_145ctc_loss_backward_collect_nonblank_gpu_kernelIflEEvPT_PKS3_lS6_S6_S6_PKlPKT0_S8_S6_llllllllllllS8_llb.numbered_sgpr, 44
	.set _ZN2at6native12_GLOBAL__N_145ctc_loss_backward_collect_nonblank_gpu_kernelIflEEvPT_PKS3_lS6_S6_S6_PKlPKT0_S8_S6_llllllllllllS8_llb.num_named_barrier, 0
	.set _ZN2at6native12_GLOBAL__N_145ctc_loss_backward_collect_nonblank_gpu_kernelIflEEvPT_PKS3_lS6_S6_S6_PKlPKT0_S8_S6_llllllllllllS8_llb.private_seg_size, 0
	.set _ZN2at6native12_GLOBAL__N_145ctc_loss_backward_collect_nonblank_gpu_kernelIflEEvPT_PKS3_lS6_S6_S6_PKlPKT0_S8_S6_llllllllllllS8_llb.uses_vcc, 1
	.set _ZN2at6native12_GLOBAL__N_145ctc_loss_backward_collect_nonblank_gpu_kernelIflEEvPT_PKS3_lS6_S6_S6_PKlPKT0_S8_S6_llllllllllllS8_llb.uses_flat_scratch, 0
	.set _ZN2at6native12_GLOBAL__N_145ctc_loss_backward_collect_nonblank_gpu_kernelIflEEvPT_PKS3_lS6_S6_S6_PKlPKT0_S8_S6_llllllllllllS8_llb.has_dyn_sized_stack, 0
	.set _ZN2at6native12_GLOBAL__N_145ctc_loss_backward_collect_nonblank_gpu_kernelIflEEvPT_PKS3_lS6_S6_S6_PKlPKT0_S8_S6_llllllllllllS8_llb.has_recursion, 0
	.set _ZN2at6native12_GLOBAL__N_145ctc_loss_backward_collect_nonblank_gpu_kernelIflEEvPT_PKS3_lS6_S6_S6_PKlPKT0_S8_S6_llllllllllllS8_llb.has_indirect_call, 0
	.section	.AMDGPU.csdata,"",@progbits
; Kernel info:
; codeLenInByte = 968
; TotalNumSgprs: 50
; NumVgprs: 28
; NumAgprs: 0
; TotalNumVgprs: 28
; ScratchSize: 0
; MemoryBound: 0
; FloatMode: 240
; IeeeMode: 1
; LDSByteSize: 0 bytes/workgroup (compile time only)
; SGPRBlocks: 6
; VGPRBlocks: 3
; NumSGPRsForWavesPerEU: 50
; NumVGPRsForWavesPerEU: 28
; AccumOffset: 28
; Occupancy: 8
; WaveLimiterHint : 1
; COMPUTE_PGM_RSRC2:SCRATCH_EN: 0
; COMPUTE_PGM_RSRC2:USER_SGPR: 2
; COMPUTE_PGM_RSRC2:TRAP_HANDLER: 0
; COMPUTE_PGM_RSRC2:TGID_X_EN: 1
; COMPUTE_PGM_RSRC2:TGID_Y_EN: 1
; COMPUTE_PGM_RSRC2:TGID_Z_EN: 0
; COMPUTE_PGM_RSRC2:TIDIG_COMP_CNT: 1
; COMPUTE_PGM_RSRC3_GFX90A:ACCUM_OFFSET: 6
; COMPUTE_PGM_RSRC3_GFX90A:TG_SPLIT: 0
	.section	.text._ZN2at6native12_GLOBAL__N_136ctc_loss_backward_collect_gpu_kernelIflEEvPT_PKS3_lS6_S6_S6_PKllPKT0_S8_lS6_llllllllllllS8_llllb,"axG",@progbits,_ZN2at6native12_GLOBAL__N_136ctc_loss_backward_collect_gpu_kernelIflEEvPT_PKS3_lS6_S6_S6_PKllPKT0_S8_lS6_llllllllllllS8_llllb,comdat
	.globl	_ZN2at6native12_GLOBAL__N_136ctc_loss_backward_collect_gpu_kernelIflEEvPT_PKS3_lS6_S6_S6_PKllPKT0_S8_lS6_llllllllllllS8_llllb ; -- Begin function _ZN2at6native12_GLOBAL__N_136ctc_loss_backward_collect_gpu_kernelIflEEvPT_PKS3_lS6_S6_S6_PKllPKT0_S8_lS6_llllllllllllS8_llllb
	.p2align	8
	.type	_ZN2at6native12_GLOBAL__N_136ctc_loss_backward_collect_gpu_kernelIflEEvPT_PKS3_lS6_S6_S6_PKllPKT0_S8_lS6_llllllllllllS8_llllb,@function
_ZN2at6native12_GLOBAL__N_136ctc_loss_backward_collect_gpu_kernelIflEEvPT_PKS3_lS6_S6_S6_PKllPKT0_S8_lS6_llllllllllllS8_llllb: ; @_ZN2at6native12_GLOBAL__N_136ctc_loss_backward_collect_gpu_kernelIflEEvPT_PKS3_lS6_S6_S6_PKllPKT0_S8_lS6_llllllllllllS8_llllb
; %bb.0:
	s_load_dword s6, s[0:1], 0xfc
	s_load_dwordx2 s[4:5], s[0:1], 0x38
	s_load_dwordx8 s[20:27], s[0:1], 0xc8
	v_bfe_u32 v1, v0, 10, 10
	v_mov_b32_e32 v3, 0
	s_waitcnt lgkmcnt(0)
	s_lshr_b32 s7, s6, 16
	s_mul_i32 s3, s3, s7
	v_add_u32_e32 v2, s3, v1
	v_and_b32_e32 v0, 0x3ff, v0
	v_mov_b32_e32 v1, v3
	s_and_b32 s3, s6, 0xffff
	v_mov_b32_e32 v4, s2
	v_mad_u64_u32 v[0:1], s[2:3], s3, v4, v[0:1]
	v_cmp_gt_i64_e32 vcc, s[4:5], v[0:1]
	v_cmp_gt_i64_e64 s[2:3], s[22:23], v[2:3]
	s_and_b64 s[2:3], vcc, s[2:3]
	s_and_saveexec_b64 s[4:5], s[2:3]
	s_cbranch_execz .LBB13_15
; %bb.1:
	s_load_dwordx2 s[4:5], s[0:1], 0x30
	s_load_dwordx2 s[2:3], s[0:1], 0x50
	s_waitcnt lgkmcnt(0)
	v_lshl_add_u64 v[4:5], v[2:3], 3, s[4:5]
	global_load_dwordx2 v[6:7], v[4:5], off
	s_load_dwordx16 s[4:19], s[0:1], 0x60
	s_load_dwordx2 s[22:23], s[0:1], 0x0
	s_waitcnt lgkmcnt(0)
	v_mad_u64_u32 v[4:5], s[28:29], s6, v2, 0
	v_mov_b32_e32 v8, v5
	v_mad_u64_u32 v[8:9], s[6:7], s7, v2, v[8:9]
	v_mov_b32_e32 v5, v8
	v_cmp_lt_i64_e64 s[28:29], s[2:3], 0
	s_mov_b64 s[6:7], 0
	s_and_b64 vcc, exec, s[28:29]
	v_mul_lo_u32 v20, v1, s4
	v_mul_lo_u32 v21, v0, s5
	v_lshl_add_u64 v[4:5], v[4:5], 2, s[22:23]
	s_cbranch_vccnz .LBB13_10
; %bb.2:
	s_load_dwordx2 s[22:23], s[0:1], 0xc0
	s_load_dwordx4 s[28:31], s[0:1], 0x40
	s_load_dwordx4 s[44:47], s[0:1], 0x18
	v_lshlrev_b64 v[8:9], 3, v[2:3]
	s_load_dwordx8 s[36:43], s[0:1], 0xa0
	s_waitcnt lgkmcnt(0)
	v_lshl_add_u64 v[10:11], s[22:23], 0, v[8:9]
	v_lshl_add_u64 v[8:9], s[30:31], 0, v[8:9]
	global_load_dwordx2 v[14:15], v[8:9], off
	global_load_dwordx2 v[16:17], v[10:11], off
	s_lshl_b64 s[22:23], s[2:3], 1
	v_mad_u64_u32 v[10:11], s[2:3], s16, v2, 0
	v_mul_lo_u32 v19, v1, s18
	v_mul_lo_u32 v23, v0, s19
	v_mad_u64_u32 v[12:13], s[2:3], v0, s18, 0
	v_mov_b32_e32 v18, v11
	v_add3_u32 v13, v13, v23, v19
	v_mad_u64_u32 v[18:19], s[2:3], s17, v2, v[18:19]
	v_mov_b32_e32 v11, v18
	v_mad_u64_u32 v[18:19], s[2:3], s38, v2, 0
	v_lshl_add_u64 v[10:11], v[10:11], 2, s[44:45]
	v_mul_lo_u32 v27, v0, s41
	v_mov_b32_e32 v26, v19
	v_lshl_add_u64 v[10:11], v[12:13], 2, v[10:11]
	v_mad_u64_u32 v[12:13], s[2:3], s39, v2, v[26:27]
	v_mad_u64_u32 v[8:9], s[2:3], v0, s4, 0
	v_mul_lo_u32 v23, v1, s40
	v_mad_u64_u32 v[24:25], s[2:3], v0, s40, 0
	v_mov_b32_e32 v19, v12
	v_add3_u32 v9, v9, v21, v20
	v_add3_u32 v25, v25, v27, v23
	v_lshl_add_u64 v[12:13], v[18:19], 2, s[46:47]
	s_mov_b32 s19, 0
	s_mov_b32 s5, 0xff800000
	;; [unrolled: 1-line block ×8, first 2 shown]
	v_mov_b32_e32 v22, 0x7f800000
	v_lshl_add_u64 v[8:9], v[8:9], 2, v[4:5]
	s_lshl_b64 s[16:17], s[36:37], 2
	s_lshl_b64 s[30:31], s[42:43], 2
	v_lshl_add_u64 v[12:13], v[24:25], 2, v[12:13]
	v_mov_b32_e32 v23, 0x41b17218
	s_waitcnt vmcnt(1)
	v_lshlrev_b64 v[14:15], 1, v[14:15]
	s_waitcnt vmcnt(0)
	v_lshl_add_u64 v[16:17], v[16:17], 3, s[28:29]
	s_branch .LBB13_5
.LBB13_3:                               ;   in Loop: Header=BB13_5 Depth=1
	s_or_b64 exec, exec, s[34:35]
	global_store_dword v[18:19], v24, off
.LBB13_4:                               ;   in Loop: Header=BB13_5 Depth=1
	s_or_b64 exec, exec, s[28:29]
	s_add_u32 s6, s6, 1
	s_addc_u32 s7, s7, 0
	v_mov_b64_e32 v[18:19], s[6:7]
	v_cmp_lt_i64_e32 vcc, s[22:23], v[18:19]
	v_lshl_add_u64 v[10:11], v[10:11], 0, s[16:17]
	v_lshl_add_u64 v[12:13], v[12:13], 0, s[30:31]
	s_cbranch_vccnz .LBB13_10
.LBB13_5:                               ; =>This Inner Loop Header: Depth=1
	v_cmp_le_i64_e32 vcc, s[6:7], v[14:15]
	s_and_saveexec_b64 s[28:29], vcc
	s_cbranch_execz .LBB13_4
; %bb.6:                                ;   in Loop: Header=BB13_5 Depth=1
	s_and_b32 s18, s6, 1
	s_cmp_eq_u64 s[18:19], 0
	v_mov_b64_e32 v[18:19], s[26:27]
	s_cbranch_scc1 .LBB13_8
; %bb.7:                                ;   in Loop: Header=BB13_5 Depth=1
	s_lshr_b64 s[2:3], s[6:7], 1
	s_lshr_b32 s3, s7, 1
	s_mul_i32 s3, s20, s3
	s_mul_hi_u32 s18, s20, s2
	s_add_i32 s3, s18, s3
	s_mul_i32 s18, s21, s2
	s_add_i32 s3, s3, s18
	s_mul_i32 s2, s20, s2
	v_lshl_add_u64 v[18:19], s[2:3], 3, v[16:17]
	global_load_dwordx2 v[18:19], v[18:19], off
.LBB13_8:                               ;   in Loop: Header=BB13_5 Depth=1
	s_waitcnt vmcnt(0)
	v_mul_lo_u32 v25, v19, s8
	v_mul_lo_u32 v27, v18, s9
	v_mad_u64_u32 v[18:19], s[2:3], v18, s8, 0
	v_add3_u32 v19, v19, v27, v25
	v_lshl_add_u64 v[18:19], v[18:19], 2, v[8:9]
	global_load_dword v24, v[10:11], off
	global_load_dword v26, v[12:13], off
	;; [unrolled: 1-line block ×3, first 2 shown]
	s_waitcnt vmcnt(1)
	v_add_f32_e32 v24, v24, v26
	s_waitcnt vmcnt(0)
	v_cmp_neq_f32_e32 vcc, s5, v25
	s_and_saveexec_b64 s[34:35], vcc
	s_cbranch_execz .LBB13_3
; %bb.9:                                ;   in Loop: Header=BB13_5 Depth=1
	v_cmp_gt_f32_e32 vcc, v25, v24
	s_nop 1
	v_cndmask_b32_e32 v26, v24, v25, vcc
	v_sub_f32_e32 v25, v25, v26
	v_mul_f32_e32 v27, 0x3fb8aa3b, v25
	v_fma_f32 v28, v25, s33, -v27
	v_rndne_f32_e32 v29, v27
	v_fmac_f32_e32 v28, 0x32a5705f, v25
	v_sub_f32_e32 v27, v27, v29
	v_add_f32_e32 v27, v27, v28
	v_exp_f32_e32 v27, v27
	v_cvt_i32_f32_e32 v28, v29
	v_sub_f32_e32 v24, v24, v26
	v_cmp_ngt_f32_e32 vcc, s48, v25
	v_ldexp_f32 v27, v27, v28
	v_mul_f32_e32 v28, 0x3fb8aa3b, v24
	v_fma_f32 v29, v24, s33, -v28
	v_rndne_f32_e32 v30, v28
	v_fmac_f32_e32 v29, 0x32a5705f, v24
	v_sub_f32_e32 v28, v28, v30
	v_add_f32_e32 v28, v28, v29
	v_exp_f32_e32 v28, v28
	v_cvt_i32_f32_e32 v29, v30
	v_cndmask_b32_e32 v27, 0, v27, vcc
	v_cmp_nlt_f32_e32 vcc, s49, v25
	s_nop 1
	v_cndmask_b32_e32 v25, v22, v27, vcc
	v_ldexp_f32 v27, v28, v29
	v_cmp_ngt_f32_e32 vcc, s48, v24
	s_nop 1
	v_cndmask_b32_e32 v27, 0, v27, vcc
	v_cmp_nlt_f32_e32 vcc, s49, v24
	s_nop 1
	v_cndmask_b32_e32 v24, v22, v27, vcc
	v_add_f32_e32 v24, v25, v24
	v_cmp_gt_f32_e32 vcc, s51, v24
	s_nop 1
	v_cndmask_b32_e64 v25, 0, 32, vcc
	v_ldexp_f32 v24, v24, v25
	v_log_f32_e32 v24, v24
	s_nop 0
	v_mul_f32_e32 v25, 0x3f317217, v24
	v_fma_f32 v25, v24, s52, -v25
	v_fmac_f32_e32 v25, 0x3377d1cf, v24
	v_fmac_f32_e32 v25, 0x3f317217, v24
	v_cmp_lt_f32_e64 s[2:3], |v24|, s50
	s_nop 1
	v_cndmask_b32_e64 v24, v24, v25, s[2:3]
	v_cndmask_b32_e32 v25, 0, v23, vcc
	v_sub_f32_e32 v24, v24, v25
	v_add_f32_e32 v24, v26, v24
	s_branch .LBB13_3
.LBB13_10:
	v_cmp_lt_i64_e64 s[2:3], s[24:25], 1
	s_and_b64 vcc, exec, s[2:3]
	s_cbranch_vccnz .LBB13_15
; %bb.11:
	s_load_dwordx2 s[2:3], s[0:1], 0x58
	s_load_dwordx4 s[16:19], s[0:1], 0x8
	s_load_dwordx2 s[6:7], s[0:1], 0x28
	s_load_dword s5, s[0:1], 0xe8
	s_waitcnt vmcnt(0)
	v_cmp_lt_i64_e32 vcc, v[0:1], v[6:7]
	s_waitcnt lgkmcnt(0)
	v_lshl_add_u64 v[8:9], v[2:3], 2, s[2:3]
	v_mad_u64_u32 v[10:11], s[0:1], s18, v2, 0
	v_mov_b32_e32 v12, v11
	global_load_dword v8, v[8:9], off
	v_mad_u64_u32 v[12:13], s[0:1], s19, v2, v[12:13]
	v_mov_b32_e32 v11, v12
	v_lshl_add_u64 v[10:11], v[10:11], 2, s[16:17]
	global_load_dword v9, v[10:11], off
	v_mad_u64_u32 v[10:11], s[0:1], s12, v2, 0
	v_mad_u64_u32 v[12:13], s[0:1], v0, s4, 0
	v_mul_lo_u32 v1, v1, s10
	v_mul_lo_u32 v3, v0, s11
	v_mad_u64_u32 v[6:7], s[0:1], v0, s10, 0
	v_mov_b32_e32 v0, v11
	v_add3_u32 v7, v7, v3, v1
	v_mad_u64_u32 v[2:3], s[0:1], s13, v2, v[0:1]
	s_bitcmp1_b32 s5, 0
	s_mov_b32 s12, 0x7f800000
	v_mov_b32_e32 v11, v2
	s_cselect_b64 s[0:1], -1, 0
	v_lshl_add_u64 v[2:3], v[10:11], 2, s[6:7]
	s_xor_b64 s[6:7], s[0:1], -1
	v_add3_u32 v13, v13, v21, v20
	s_mov_b32 s10, 0x3fb8aa3b
	s_mov_b32 s11, 0xc2ce8ed0
	v_lshl_add_u64 v[0:1], v[12:13], 2, v[4:5]
	v_lshl_add_u64 v[2:3], v[6:7], 2, v[2:3]
	s_lshl_b64 s[2:3], s[14:15], 2
	s_lshl_b64 s[4:5], s[8:9], 2
	s_mov_b32 s8, 0x42b17218
	v_mov_b32_e32 v4, 0x7f800000
	s_waitcnt vmcnt(1)
	v_cmp_neq_f32_e64 s[0:1], s12, v8
	s_or_b64 s[0:1], s[6:7], s[0:1]
	s_and_b64 s[0:1], vcc, s[0:1]
	s_branch .LBB13_13
.LBB13_12:                              ;   in Loop: Header=BB13_13 Depth=1
	s_or_b64 exec, exec, s[6:7]
	s_add_u32 s24, s24, -1
	s_addc_u32 s25, s25, -1
	global_store_dword v[0:1], v5, off
	v_lshl_add_u64 v[2:3], v[2:3], 0, s[2:3]
	s_cmp_lg_u64 s[24:25], 0
	v_lshl_add_u64 v[0:1], v[0:1], 0, s[4:5]
	s_cbranch_scc0 .LBB13_15
.LBB13_13:                              ; =>This Inner Loop Header: Depth=1
	v_mov_b32_e32 v5, 0
	s_and_saveexec_b64 s[6:7], s[0:1]
	s_cbranch_execz .LBB13_12
; %bb.14:                               ;   in Loop: Header=BB13_13 Depth=1
	global_load_dword v5, v[2:3], off
	global_load_dword v6, v[0:1], off
	s_waitcnt vmcnt(1)
	v_mul_f32_e32 v7, 0x3fb8aa3b, v5
	s_waitcnt vmcnt(0)
	v_add_f32_e32 v6, v8, v6
	v_rndne_f32_e32 v10, v7
	v_fma_f32 v11, v5, s10, -v7
	v_sub_f32_e32 v6, v6, v5
	v_sub_f32_e32 v7, v7, v10
	v_fmac_f32_e32 v11, 0x32a5705f, v5
	v_mul_f32_e32 v12, 0x3fb8aa3b, v6
	v_add_f32_e32 v7, v7, v11
	v_fma_f32 v11, v6, s10, -v12
	v_rndne_f32_e32 v13, v12
	v_cvt_i32_f32_e32 v10, v10
	v_exp_f32_e32 v7, v7
	v_fmac_f32_e32 v11, 0x32a5705f, v6
	v_sub_f32_e32 v12, v12, v13
	v_add_f32_e32 v11, v12, v11
	v_cvt_i32_f32_e32 v13, v13
	v_exp_f32_e32 v11, v11
	v_ldexp_f32 v7, v7, v10
	v_cmp_ngt_f32_e32 vcc, s11, v5
	s_nop 1
	v_cndmask_b32_e32 v7, 0, v7, vcc
	v_cmp_nlt_f32_e32 vcc, s8, v5
	s_nop 1
	v_cndmask_b32_e32 v5, v4, v7, vcc
	v_ldexp_f32 v7, v11, v13
	v_cmp_ngt_f32_e32 vcc, s11, v6
	s_nop 1
	v_cndmask_b32_e32 v7, 0, v7, vcc
	v_cmp_nlt_f32_e32 vcc, s8, v6
	s_nop 1
	v_cndmask_b32_e32 v6, v4, v7, vcc
	v_sub_f32_e32 v5, v5, v6
	v_mul_f32_e32 v5, v9, v5
	s_branch .LBB13_12
.LBB13_15:
	s_endpgm
	.section	.rodata,"a",@progbits
	.p2align	6, 0x0
	.amdhsa_kernel _ZN2at6native12_GLOBAL__N_136ctc_loss_backward_collect_gpu_kernelIflEEvPT_PKS3_lS6_S6_S6_PKllPKT0_S8_lS6_llllllllllllS8_llllb
		.amdhsa_group_segment_fixed_size 0
		.amdhsa_private_segment_fixed_size 0
		.amdhsa_kernarg_size 496
		.amdhsa_user_sgpr_count 2
		.amdhsa_user_sgpr_dispatch_ptr 0
		.amdhsa_user_sgpr_queue_ptr 0
		.amdhsa_user_sgpr_kernarg_segment_ptr 1
		.amdhsa_user_sgpr_dispatch_id 0
		.amdhsa_user_sgpr_kernarg_preload_length 0
		.amdhsa_user_sgpr_kernarg_preload_offset 0
		.amdhsa_user_sgpr_private_segment_size 0
		.amdhsa_uses_dynamic_stack 0
		.amdhsa_enable_private_segment 0
		.amdhsa_system_sgpr_workgroup_id_x 1
		.amdhsa_system_sgpr_workgroup_id_y 1
		.amdhsa_system_sgpr_workgroup_id_z 0
		.amdhsa_system_sgpr_workgroup_info 0
		.amdhsa_system_vgpr_workitem_id 1
		.amdhsa_next_free_vgpr 31
		.amdhsa_next_free_sgpr 53
		.amdhsa_accum_offset 32
		.amdhsa_reserve_vcc 1
		.amdhsa_float_round_mode_32 0
		.amdhsa_float_round_mode_16_64 0
		.amdhsa_float_denorm_mode_32 3
		.amdhsa_float_denorm_mode_16_64 3
		.amdhsa_dx10_clamp 1
		.amdhsa_ieee_mode 1
		.amdhsa_fp16_overflow 0
		.amdhsa_tg_split 0
		.amdhsa_exception_fp_ieee_invalid_op 0
		.amdhsa_exception_fp_denorm_src 0
		.amdhsa_exception_fp_ieee_div_zero 0
		.amdhsa_exception_fp_ieee_overflow 0
		.amdhsa_exception_fp_ieee_underflow 0
		.amdhsa_exception_fp_ieee_inexact 0
		.amdhsa_exception_int_div_zero 0
	.end_amdhsa_kernel
	.section	.text._ZN2at6native12_GLOBAL__N_136ctc_loss_backward_collect_gpu_kernelIflEEvPT_PKS3_lS6_S6_S6_PKllPKT0_S8_lS6_llllllllllllS8_llllb,"axG",@progbits,_ZN2at6native12_GLOBAL__N_136ctc_loss_backward_collect_gpu_kernelIflEEvPT_PKS3_lS6_S6_S6_PKllPKT0_S8_lS6_llllllllllllS8_llllb,comdat
.Lfunc_end13:
	.size	_ZN2at6native12_GLOBAL__N_136ctc_loss_backward_collect_gpu_kernelIflEEvPT_PKS3_lS6_S6_S6_PKllPKT0_S8_lS6_llllllllllllS8_llllb, .Lfunc_end13-_ZN2at6native12_GLOBAL__N_136ctc_loss_backward_collect_gpu_kernelIflEEvPT_PKS3_lS6_S6_S6_PKllPKT0_S8_lS6_llllllllllllS8_llllb
                                        ; -- End function
	.set _ZN2at6native12_GLOBAL__N_136ctc_loss_backward_collect_gpu_kernelIflEEvPT_PKS3_lS6_S6_S6_PKllPKT0_S8_lS6_llllllllllllS8_llllb.num_vgpr, 31
	.set _ZN2at6native12_GLOBAL__N_136ctc_loss_backward_collect_gpu_kernelIflEEvPT_PKS3_lS6_S6_S6_PKllPKT0_S8_lS6_llllllllllllS8_llllb.num_agpr, 0
	.set _ZN2at6native12_GLOBAL__N_136ctc_loss_backward_collect_gpu_kernelIflEEvPT_PKS3_lS6_S6_S6_PKllPKT0_S8_lS6_llllllllllllS8_llllb.numbered_sgpr, 53
	.set _ZN2at6native12_GLOBAL__N_136ctc_loss_backward_collect_gpu_kernelIflEEvPT_PKS3_lS6_S6_S6_PKllPKT0_S8_lS6_llllllllllllS8_llllb.num_named_barrier, 0
	.set _ZN2at6native12_GLOBAL__N_136ctc_loss_backward_collect_gpu_kernelIflEEvPT_PKS3_lS6_S6_S6_PKllPKT0_S8_lS6_llllllllllllS8_llllb.private_seg_size, 0
	.set _ZN2at6native12_GLOBAL__N_136ctc_loss_backward_collect_gpu_kernelIflEEvPT_PKS3_lS6_S6_S6_PKllPKT0_S8_lS6_llllllllllllS8_llllb.uses_vcc, 1
	.set _ZN2at6native12_GLOBAL__N_136ctc_loss_backward_collect_gpu_kernelIflEEvPT_PKS3_lS6_S6_S6_PKllPKT0_S8_lS6_llllllllllllS8_llllb.uses_flat_scratch, 0
	.set _ZN2at6native12_GLOBAL__N_136ctc_loss_backward_collect_gpu_kernelIflEEvPT_PKS3_lS6_S6_S6_PKllPKT0_S8_lS6_llllllllllllS8_llllb.has_dyn_sized_stack, 0
	.set _ZN2at6native12_GLOBAL__N_136ctc_loss_backward_collect_gpu_kernelIflEEvPT_PKS3_lS6_S6_S6_PKllPKT0_S8_lS6_llllllllllllS8_llllb.has_recursion, 0
	.set _ZN2at6native12_GLOBAL__N_136ctc_loss_backward_collect_gpu_kernelIflEEvPT_PKS3_lS6_S6_S6_PKllPKT0_S8_lS6_llllllllllllS8_llllb.has_indirect_call, 0
	.section	.AMDGPU.csdata,"",@progbits
; Kernel info:
; codeLenInByte = 1636
; TotalNumSgprs: 59
; NumVgprs: 31
; NumAgprs: 0
; TotalNumVgprs: 31
; ScratchSize: 0
; MemoryBound: 0
; FloatMode: 240
; IeeeMode: 1
; LDSByteSize: 0 bytes/workgroup (compile time only)
; SGPRBlocks: 7
; VGPRBlocks: 3
; NumSGPRsForWavesPerEU: 59
; NumVGPRsForWavesPerEU: 31
; AccumOffset: 32
; Occupancy: 8
; WaveLimiterHint : 1
; COMPUTE_PGM_RSRC2:SCRATCH_EN: 0
; COMPUTE_PGM_RSRC2:USER_SGPR: 2
; COMPUTE_PGM_RSRC2:TRAP_HANDLER: 0
; COMPUTE_PGM_RSRC2:TGID_X_EN: 1
; COMPUTE_PGM_RSRC2:TGID_Y_EN: 1
; COMPUTE_PGM_RSRC2:TGID_Z_EN: 0
; COMPUTE_PGM_RSRC2:TIDIG_COMP_CNT: 1
; COMPUTE_PGM_RSRC3_GFX90A:ACCUM_OFFSET: 7
; COMPUTE_PGM_RSRC3_GFX90A:TG_SPLIT: 0
	.section	.text._ZN2at6native12_GLOBAL__N_130ctc_loss_zero_padded_gradientsIfEEvPT_PKlllllll,"axG",@progbits,_ZN2at6native12_GLOBAL__N_130ctc_loss_zero_padded_gradientsIfEEvPT_PKlllllll,comdat
	.globl	_ZN2at6native12_GLOBAL__N_130ctc_loss_zero_padded_gradientsIfEEvPT_PKlllllll ; -- Begin function _ZN2at6native12_GLOBAL__N_130ctc_loss_zero_padded_gradientsIfEEvPT_PKlllllll
	.p2align	8
	.type	_ZN2at6native12_GLOBAL__N_130ctc_loss_zero_padded_gradientsIfEEvPT_PKlllllll,@function
_ZN2at6native12_GLOBAL__N_130ctc_loss_zero_padded_gradientsIfEEvPT_PKlllllll: ; @_ZN2at6native12_GLOBAL__N_130ctc_loss_zero_padded_gradientsIfEEvPT_PKlllllll
; %bb.0:
	s_load_dword s16, s[0:1], 0x4c
	s_load_dwordx4 s[12:15], s[0:1], 0x30
	s_load_dwordx8 s[4:11], s[0:1], 0x10
	v_bfe_u32 v1, v0, 10, 10
	v_mov_b32_e32 v3, 0
	s_waitcnt lgkmcnt(0)
	s_lshr_b32 s17, s16, 16
	s_mul_i32 s3, s3, s17
	v_add_u32_e32 v2, s3, v1
	v_and_b32_e32 v0, 0x3ff, v0
	v_mov_b32_e32 v1, v3
	s_and_b32 s3, s16, 0xffff
	v_mov_b32_e32 v4, s2
	v_mad_u64_u32 v[0:1], s[2:3], s3, v4, v[0:1]
	v_cmp_gt_i64_e32 vcc, s[12:13], v[2:3]
	v_cmp_gt_i64_e64 s[2:3], s[10:11], v[0:1]
	s_and_b64 s[2:3], vcc, s[2:3]
	s_and_saveexec_b64 s[10:11], s[2:3]
	s_cbranch_execz .LBB14_9
; %bb.1:
	s_load_dwordx2 s[2:3], s[0:1], 0x8
	v_cmp_gt_i64_e64 s[10:11], s[14:15], 0
	s_waitcnt lgkmcnt(0)
	v_lshl_add_u64 v[4:5], v[2:3], 3, s[2:3]
	global_load_dwordx2 v[4:5], v[4:5], off
	v_ffbh_u32_e32 v3, v1
	v_min_u32_e32 v3, 32, v3
	v_lshlrev_b64 v[6:7], v3, v[0:1]
	v_min_u32_e32 v6, 1, v6
	v_or_b32_e32 v6, v7, v6
	v_cvt_f32_u32_e32 v6, v6
	v_sub_u32_e32 v3, 32, v3
	s_mov_b64 s[2:3], 0
	v_ldexp_f32 v3, v6, v3
	s_waitcnt vmcnt(0)
	v_xor_b32_e32 v7, v4, v5
	v_ffbh_i32_e32 v8, v5
	v_ashrrev_i32_e32 v7, 31, v7
	v_add_u32_e32 v8, -1, v8
	v_add_u32_e32 v7, 32, v7
	v_min_u32_e32 v7, v8, v7
	v_lshlrev_b64 v[4:5], v7, v[4:5]
	v_min_u32_e32 v4, 1, v4
	v_or_b32_e32 v4, v5, v4
	v_cvt_f32_i32_e32 v4, v4
	v_sub_u32_e32 v5, 32, v7
	v_ldexp_f32 v4, v4, v5
	v_cmp_ge_f32_e32 vcc, v3, v4
	s_and_b64 s[10:11], vcc, s[10:11]
	s_and_b64 exec, exec, s[10:11]
	s_cbranch_execz .LBB14_9
; %bb.2:
	v_mul_lo_u32 v3, v1, s4
	v_mul_lo_u32 v4, v0, s5
	v_mad_u64_u32 v[0:1], s[4:5], v0, s4, 0
	s_load_dwordx2 s[0:1], s[0:1], 0x0
	v_add3_u32 v1, v1, v4, v3
	v_mad_u64_u32 v[4:5], s[4:5], s6, v2, 0
	v_mov_b32_e32 v6, v5
	s_cmp_lg_u64 s[8:9], 1
	v_mad_u64_u32 v[2:3], s[4:5], s7, v2, v[6:7]
	v_cmp_lt_u64_e64 s[6:7], s[14:15], 2
	s_cselect_b64 s[10:11], -1, 0
	s_or_b64 s[6:7], s[6:7], s[10:11]
	v_mov_b32_e32 v5, v2
	s_mov_b64 s[4:5], -1
	s_and_b64 vcc, exec, s[6:7]
	s_cbranch_vccnz .LBB14_6
; %bb.3:
	s_waitcnt lgkmcnt(0)
	v_lshl_add_u64 v[2:3], v[0:1], 2, s[0:1]
	s_and_b32 s3, s15, 0x7fffffff
	s_and_b32 s2, s14, -2
	v_mov_b32_e32 v6, 0
	v_lshl_add_u64 v[2:3], v[4:5], 2, v[2:3]
	v_mov_b32_e32 v7, v6
	s_mov_b64 s[4:5], s[2:3]
.LBB14_4:                               ; =>This Inner Loop Header: Depth=1
	s_add_u32 s4, s4, -2
	s_addc_u32 s5, s5, -1
	global_store_dwordx2 v[2:3], v[6:7], off
	s_cmp_lg_u64 s[4:5], 0
	v_lshl_add_u64 v[2:3], v[2:3], 0, 8
	s_cbranch_scc1 .LBB14_4
; %bb.5:
	s_cmp_lg_u64 s[14:15], s[2:3]
	s_cselect_b64 s[4:5], -1, 0
.LBB14_6:
	s_and_b64 vcc, exec, s[4:5]
	s_cbranch_vccz .LBB14_9
; %bb.7:
	s_mul_i32 s4, s2, s9
	s_mul_hi_u32 s5, s2, s8
	s_add_i32 s4, s5, s4
	s_mul_i32 s5, s3, s8
	s_add_i32 s5, s4, s5
	s_mul_i32 s4, s2, s8
	v_lshlrev_b64 v[0:1], 2, v[0:1]
	v_lshl_add_u64 v[0:1], s[4:5], 2, v[0:1]
	v_lshl_add_u64 v[0:1], v[4:5], 2, v[0:1]
	s_waitcnt lgkmcnt(0)
	v_lshl_add_u64 v[0:1], s[0:1], 0, v[0:1]
	s_lshl_b64 s[0:1], s[8:9], 2
	v_mov_b32_e32 v2, 0
.LBB14_8:                               ; =>This Inner Loop Header: Depth=1
	s_add_u32 s2, s2, 1
	s_addc_u32 s3, s3, 0
	v_mov_b64_e32 v[4:5], s[2:3]
	v_cmp_gt_i64_e32 vcc, s[14:15], v[4:5]
	global_store_dword v[0:1], v2, off
	v_lshl_add_u64 v[0:1], v[0:1], 0, s[0:1]
	s_cbranch_vccnz .LBB14_8
.LBB14_9:
	s_endpgm
	.section	.rodata,"a",@progbits
	.p2align	6, 0x0
	.amdhsa_kernel _ZN2at6native12_GLOBAL__N_130ctc_loss_zero_padded_gradientsIfEEvPT_PKlllllll
		.amdhsa_group_segment_fixed_size 0
		.amdhsa_private_segment_fixed_size 0
		.amdhsa_kernarg_size 320
		.amdhsa_user_sgpr_count 2
		.amdhsa_user_sgpr_dispatch_ptr 0
		.amdhsa_user_sgpr_queue_ptr 0
		.amdhsa_user_sgpr_kernarg_segment_ptr 1
		.amdhsa_user_sgpr_dispatch_id 0
		.amdhsa_user_sgpr_kernarg_preload_length 0
		.amdhsa_user_sgpr_kernarg_preload_offset 0
		.amdhsa_user_sgpr_private_segment_size 0
		.amdhsa_uses_dynamic_stack 0
		.amdhsa_enable_private_segment 0
		.amdhsa_system_sgpr_workgroup_id_x 1
		.amdhsa_system_sgpr_workgroup_id_y 1
		.amdhsa_system_sgpr_workgroup_id_z 0
		.amdhsa_system_sgpr_workgroup_info 0
		.amdhsa_system_vgpr_workitem_id 1
		.amdhsa_next_free_vgpr 9
		.amdhsa_next_free_sgpr 18
		.amdhsa_accum_offset 12
		.amdhsa_reserve_vcc 1
		.amdhsa_float_round_mode_32 0
		.amdhsa_float_round_mode_16_64 0
		.amdhsa_float_denorm_mode_32 3
		.amdhsa_float_denorm_mode_16_64 3
		.amdhsa_dx10_clamp 1
		.amdhsa_ieee_mode 1
		.amdhsa_fp16_overflow 0
		.amdhsa_tg_split 0
		.amdhsa_exception_fp_ieee_invalid_op 0
		.amdhsa_exception_fp_denorm_src 0
		.amdhsa_exception_fp_ieee_div_zero 0
		.amdhsa_exception_fp_ieee_overflow 0
		.amdhsa_exception_fp_ieee_underflow 0
		.amdhsa_exception_fp_ieee_inexact 0
		.amdhsa_exception_int_div_zero 0
	.end_amdhsa_kernel
	.section	.text._ZN2at6native12_GLOBAL__N_130ctc_loss_zero_padded_gradientsIfEEvPT_PKlllllll,"axG",@progbits,_ZN2at6native12_GLOBAL__N_130ctc_loss_zero_padded_gradientsIfEEvPT_PKlllllll,comdat
.Lfunc_end14:
	.size	_ZN2at6native12_GLOBAL__N_130ctc_loss_zero_padded_gradientsIfEEvPT_PKlllllll, .Lfunc_end14-_ZN2at6native12_GLOBAL__N_130ctc_loss_zero_padded_gradientsIfEEvPT_PKlllllll
                                        ; -- End function
	.set _ZN2at6native12_GLOBAL__N_130ctc_loss_zero_padded_gradientsIfEEvPT_PKlllllll.num_vgpr, 9
	.set _ZN2at6native12_GLOBAL__N_130ctc_loss_zero_padded_gradientsIfEEvPT_PKlllllll.num_agpr, 0
	.set _ZN2at6native12_GLOBAL__N_130ctc_loss_zero_padded_gradientsIfEEvPT_PKlllllll.numbered_sgpr, 18
	.set _ZN2at6native12_GLOBAL__N_130ctc_loss_zero_padded_gradientsIfEEvPT_PKlllllll.num_named_barrier, 0
	.set _ZN2at6native12_GLOBAL__N_130ctc_loss_zero_padded_gradientsIfEEvPT_PKlllllll.private_seg_size, 0
	.set _ZN2at6native12_GLOBAL__N_130ctc_loss_zero_padded_gradientsIfEEvPT_PKlllllll.uses_vcc, 1
	.set _ZN2at6native12_GLOBAL__N_130ctc_loss_zero_padded_gradientsIfEEvPT_PKlllllll.uses_flat_scratch, 0
	.set _ZN2at6native12_GLOBAL__N_130ctc_loss_zero_padded_gradientsIfEEvPT_PKlllllll.has_dyn_sized_stack, 0
	.set _ZN2at6native12_GLOBAL__N_130ctc_loss_zero_padded_gradientsIfEEvPT_PKlllllll.has_recursion, 0
	.set _ZN2at6native12_GLOBAL__N_130ctc_loss_zero_padded_gradientsIfEEvPT_PKlllllll.has_indirect_call, 0
	.section	.AMDGPU.csdata,"",@progbits
; Kernel info:
; codeLenInByte = 560
; TotalNumSgprs: 24
; NumVgprs: 9
; NumAgprs: 0
; TotalNumVgprs: 9
; ScratchSize: 0
; MemoryBound: 0
; FloatMode: 240
; IeeeMode: 1
; LDSByteSize: 0 bytes/workgroup (compile time only)
; SGPRBlocks: 2
; VGPRBlocks: 1
; NumSGPRsForWavesPerEU: 24
; NumVGPRsForWavesPerEU: 9
; AccumOffset: 12
; Occupancy: 8
; WaveLimiterHint : 0
; COMPUTE_PGM_RSRC2:SCRATCH_EN: 0
; COMPUTE_PGM_RSRC2:USER_SGPR: 2
; COMPUTE_PGM_RSRC2:TRAP_HANDLER: 0
; COMPUTE_PGM_RSRC2:TGID_X_EN: 1
; COMPUTE_PGM_RSRC2:TGID_Y_EN: 1
; COMPUTE_PGM_RSRC2:TGID_Z_EN: 0
; COMPUTE_PGM_RSRC2:TIDIG_COMP_CNT: 1
; COMPUTE_PGM_RSRC3_GFX90A:ACCUM_OFFSET: 2
; COMPUTE_PGM_RSRC3_GFX90A:TG_SPLIT: 0
	.section	.text._ZN2at6native12_GLOBAL__N_137ctc_loss_backward_log_beta_gpu_kernelIfiEEvPT_PKS3_PKllPKT0_S8_lllllllS8_lll,"axG",@progbits,_ZN2at6native12_GLOBAL__N_137ctc_loss_backward_log_beta_gpu_kernelIfiEEvPT_PKS3_PKllPKT0_S8_lllllllS8_lll,comdat
	.globl	_ZN2at6native12_GLOBAL__N_137ctc_loss_backward_log_beta_gpu_kernelIfiEEvPT_PKS3_PKllPKT0_S8_lllllllS8_lll ; -- Begin function _ZN2at6native12_GLOBAL__N_137ctc_loss_backward_log_beta_gpu_kernelIfiEEvPT_PKS3_PKllPKT0_S8_lllllllS8_lll
	.p2align	8
	.type	_ZN2at6native12_GLOBAL__N_137ctc_loss_backward_log_beta_gpu_kernelIfiEEvPT_PKS3_PKllPKT0_S8_lllllllS8_lll,@function
_ZN2at6native12_GLOBAL__N_137ctc_loss_backward_log_beta_gpu_kernelIfiEEvPT_PKS3_PKllPKT0_S8_lllllllS8_lll: ; @_ZN2at6native12_GLOBAL__N_137ctc_loss_backward_log_beta_gpu_kernelIfiEEvPT_PKS3_PKllPKT0_S8_lllllllS8_lll
; %bb.0:
	s_load_dword s2, s[0:1], 0x94
	s_load_dwordx4 s[20:23], s[0:1], 0x70
	s_add_u32 s12, s0, 0x88
	s_addc_u32 s13, s1, 0
	v_bfe_u32 v1, v0, 10, 10
	s_waitcnt lgkmcnt(0)
	s_lshr_b32 s2, s2, 16
	s_mul_i32 s3, s3, s2
	v_add_u32_e32 v12, s3, v1
	v_mov_b32_e32 v13, 0
	v_cmp_gt_i64_e32 vcc, s[22:23], v[12:13]
	s_and_saveexec_b64 s[2:3], vcc
	s_cbranch_execz .LBB15_43
; %bb.1:
	s_load_dwordx2 s[2:3], s[0:1], 0x10
	s_waitcnt lgkmcnt(0)
	v_lshl_add_u64 v[2:3], v[12:13], 3, s[2:3]
	global_load_dwordx2 v[2:3], v[2:3], off
	s_waitcnt vmcnt(0)
	v_cmp_ne_u64_e32 vcc, 0, v[2:3]
	s_and_b64 exec, exec, vcc
	s_cbranch_execz .LBB15_43
; %bb.2:
	s_load_dwordx2 s[2:3], s[0:1], 0x28
	s_load_dwordx2 s[4:5], s[0:1], 0x68
	v_lshlrev_b64 v[4:5], 3, v[12:13]
	s_waitcnt lgkmcnt(0)
	v_lshl_add_u64 v[6:7], s[2:3], 0, v[4:5]
	v_lshl_add_u64 v[4:5], s[4:5], 0, v[4:5]
	global_load_dwordx2 v[14:15], v[6:7], off
	global_load_dwordx2 v[8:9], v[4:5], off
	s_load_dwordx8 s[4:11], s[0:1], 0x30
	s_load_dword s2, s[12:13], 0xc
	s_waitcnt lgkmcnt(0)
	s_lshl_b64 s[22:23], s[4:5], 1
	s_and_b32 s33, s2, 0xffff
	s_mov_b32 s2, 0
	s_mov_b32 s3, s23
	s_cmp_lg_u64 s[2:3], 0
	s_cbranch_scc0 .LBB15_44
; %bb.3:
	s_add_u32 s2, s33, 0
	s_addc_u32 s3, 0, 0
	s_xor_b64 s[4:5], s[2:3], 0
	v_cvt_f32_u32_e32 v1, s4
	v_cvt_f32_u32_e32 v4, s5
	s_sub_u32 s14, 0, s4
	s_subb_u32 s15, 0, s5
	v_fmamk_f32 v1, v4, 0x4f800000, v1
	v_rcp_f32_e32 v1, v1
	s_nop 0
	v_mul_f32_e32 v1, 0x5f7ffffc, v1
	v_mul_f32_e32 v4, 0x2f800000, v1
	v_trunc_f32_e32 v4, v4
	v_fmamk_f32 v1, v4, 0xcf800000, v1
	v_cvt_u32_f32_e32 v4, v4
	v_cvt_u32_f32_e32 v1, v1
	v_readfirstlane_b32 s16, v4
	v_readfirstlane_b32 s12, v1
	s_mul_i32 s13, s14, s16
	s_mul_hi_u32 s18, s14, s12
	s_mul_i32 s17, s15, s12
	s_add_i32 s13, s18, s13
	s_add_i32 s13, s13, s17
	s_mul_i32 s19, s14, s12
	s_mul_i32 s18, s12, s13
	s_mul_hi_u32 s24, s12, s19
	s_mul_hi_u32 s17, s12, s13
	s_add_u32 s18, s24, s18
	s_addc_u32 s17, 0, s17
	s_mul_hi_u32 s25, s16, s19
	s_mul_i32 s19, s16, s19
	s_add_u32 s18, s18, s19
	s_mul_hi_u32 s24, s16, s13
	s_addc_u32 s17, s17, s25
	s_addc_u32 s18, s24, 0
	s_mul_i32 s13, s16, s13
	s_add_u32 s13, s17, s13
	s_addc_u32 s17, 0, s18
	s_add_u32 s18, s12, s13
	s_cselect_b64 s[12:13], -1, 0
	s_cmp_lg_u64 s[12:13], 0
	s_addc_u32 s16, s16, s17
	s_mul_i32 s12, s14, s16
	s_mul_hi_u32 s13, s14, s18
	s_add_i32 s12, s13, s12
	s_mul_i32 s15, s15, s18
	s_add_i32 s12, s12, s15
	s_mul_i32 s14, s14, s18
	s_mul_hi_u32 s15, s16, s14
	s_mul_i32 s17, s16, s14
	s_mul_i32 s24, s18, s12
	s_mul_hi_u32 s14, s18, s14
	s_mul_hi_u32 s19, s18, s12
	s_add_u32 s14, s14, s24
	s_addc_u32 s19, 0, s19
	s_add_u32 s14, s14, s17
	s_mul_hi_u32 s13, s16, s12
	s_addc_u32 s14, s19, s15
	s_addc_u32 s13, s13, 0
	s_mul_i32 s12, s16, s12
	s_add_u32 s12, s14, s12
	s_addc_u32 s14, 0, s13
	s_add_u32 s17, s18, s12
	s_cselect_b64 s[12:13], -1, 0
	s_cmp_lg_u64 s[12:13], 0
	s_addc_u32 s16, s16, s14
	s_ashr_i32 s12, s23, 31
	s_add_u32 s14, s22, s12
	s_mov_b32 s13, s12
	s_addc_u32 s15, s23, s12
	s_xor_b64 s[14:15], s[14:15], s[12:13]
	s_mul_i32 s19, s14, s16
	s_mul_hi_u32 s24, s14, s17
	s_mul_hi_u32 s18, s14, s16
	s_add_u32 s19, s24, s19
	s_addc_u32 s18, 0, s18
	s_mul_hi_u32 s25, s15, s17
	s_mul_i32 s17, s15, s17
	s_add_u32 s17, s19, s17
	s_mul_hi_u32 s24, s15, s16
	s_addc_u32 s17, s18, s25
	s_addc_u32 s18, s24, 0
	s_mul_i32 s16, s15, s16
	s_add_u32 s16, s17, s16
	s_addc_u32 s17, 0, s18
	s_mul_i32 s17, s4, s17
	s_mul_hi_u32 s18, s4, s16
	s_add_i32 s17, s18, s17
	s_mul_i32 s18, s5, s16
	s_add_i32 s24, s17, s18
	s_sub_i32 s18, s15, s24
	s_mul_i32 s16, s4, s16
	s_sub_u32 s14, s14, s16
	s_cselect_b64 s[16:17], -1, 0
	s_cmp_lg_u64 s[16:17], 0
	s_subb_u32 s25, s18, s5
	s_sub_u32 s26, s14, s4
	s_cselect_b64 s[18:19], -1, 0
	s_cmp_lg_u64 s[18:19], 0
	s_subb_u32 s27, s25, 0
	s_cmp_ge_u32 s27, s5
	s_cselect_b32 s28, -1, 0
	s_cmp_ge_u32 s26, s4
	s_cselect_b32 s29, -1, 0
	s_cmp_eq_u32 s27, s5
	s_cselect_b32 s28, s29, s28
	s_cmp_lg_u64 s[18:19], 0
	s_subb_u32 s25, s25, s5
	s_sub_u32 s29, s26, s4
	s_cselect_b64 s[18:19], -1, 0
	s_cmp_lg_u64 s[18:19], 0
	s_subb_u32 s18, s25, 0
	s_cmp_lg_u32 s28, 0
	s_cselect_b32 s19, s29, s26
	s_cselect_b32 s18, s18, s27
	s_cmp_lg_u64 s[16:17], 0
	s_subb_u32 s15, s15, s24
	s_cmp_ge_u32 s15, s5
	s_cselect_b32 s16, -1, 0
	s_cmp_ge_u32 s14, s4
	s_cselect_b32 s4, -1, 0
	s_cmp_eq_u32 s15, s5
	s_cselect_b32 s4, s4, s16
	s_cmp_lg_u32 s4, 0
	s_cselect_b32 s5, s18, s15
	s_cselect_b32 s4, s19, s14
	s_xor_b64 s[4:5], s[4:5], s[12:13]
	s_sub_u32 s36, s4, s12
	s_subb_u32 s37, s5, s12
	s_cbranch_execnz .LBB15_5
.LBB15_4:
	v_cvt_f32_u32_e32 v1, s33
	s_sub_i32 s2, 0, s33
	s_mov_b32 s37, 0
	v_rcp_iflag_f32_e32 v1, v1
	s_nop 0
	v_mul_f32_e32 v1, 0x4f7ffffe, v1
	v_cvt_u32_f32_e32 v1, v1
	s_nop 0
	v_readfirstlane_b32 s3, v1
	s_mul_i32 s2, s2, s3
	s_mul_hi_u32 s2, s3, s2
	s_add_i32 s3, s3, s2
	s_mul_hi_u32 s2, s22, s3
	s_mul_i32 s2, s2, s33
	s_sub_i32 s2, s22, s2
	s_sub_i32 s3, s2, s33
	s_cmp_ge_u32 s2, s33
	s_cselect_b32 s2, s3, s2
	s_sub_i32 s3, s2, s33
	s_cmp_ge_u32 s2, s33
	s_cselect_b32 s36, s3, s2
.LBB15_5:
	s_sub_u32 s28, s22, s36
	s_subb_u32 s29, s23, s37
	v_cmp_lt_i64_e64 s[2:3], s[28:29], 0
	s_and_b64 vcc, exec, s[2:3]
	s_cbranch_vccnz .LBB15_43
; %bb.6:
	s_load_dwordx2 s[30:31], s[0:1], 0x80
	s_load_dwordx8 s[12:19], s[0:1], 0x50
	s_load_dwordx4 s[24:27], s[0:1], 0x0
	s_load_dwordx2 s[2:3], s[0:1], 0x20
	v_mad_u64_u32 v[22:23], s[4:5], s8, v12, 0
	v_mov_b32_e32 v4, v23
	v_lshl_add_u64 v[10:11], v[2:3], 0, -1
	v_mad_u64_u32 v[4:5], s[4:5], s9, v12, v[4:5]
	s_waitcnt vmcnt(0) lgkmcnt(0)
	v_lshl_add_u64 v[8:9], v[8:9], 2, s[2:3]
	v_mad_u64_u32 v[16:17], s[2:3], v10, s6, 0
	v_mov_b32_e32 v23, v4
	v_lshlrev_b64 v[4:5], 1, v[14:15]
	v_mul_lo_u32 v13, v11, s6
	v_mul_lo_u32 v18, v10, s7
	s_mul_i32 s2, s30, s11
	s_mul_hi_u32 s3, s30, s10
	v_lshl_add_u64 v[6:7], v[4:5], 0, -1
	v_add3_u32 v17, v17, v18, v13
	v_lshl_add_u64 v[18:19], v[22:23], 2, s[26:27]
	s_add_i32 s2, s3, s2
	s_mul_i32 s3, s31, s10
	v_lshl_add_u64 v[16:17], v[16:17], 2, v[18:19]
	s_add_i32 s3, s2, s3
	s_mul_i32 s2, s30, s10
	v_alignbit_b32 v13, v7, v6, 1
	v_lshl_add_u64 v[26:27], s[2:3], 2, v[16:17]
	v_mul_lo_u32 v20, v13, s21
	v_mad_u64_u32 v[18:19], s[2:3], v13, s20, 0
	v_lshrrev_b32_e32 v13, 1, v7
	v_and_b32_e32 v0, 0x3ff, v0
	v_mov_b32_e32 v1, 0
	v_mul_lo_u32 v13, v13, s20
	v_add3_u32 v19, v19, v20, v13
	v_lshl_add_u64 v[20:21], s[22:23], 0, v[0:1]
	v_mov_b32_e32 v13, s37
	v_subrev_co_u32_e64 v24, s[4:5], s36, v20
	v_lshl_add_u64 v[28:29], v[18:19], 2, v[8:9]
	s_nop 0
	v_subb_co_u32_e64 v25, vcc, v21, v13, s[4:5]
	v_mul_lo_u32 v13, s17, v24
	v_mul_lo_u32 v20, s16, v25
	v_mad_u64_u32 v[18:19], s[2:3], s16, v24, 0
	v_add3_u32 v19, v19, v20, v13
	v_mul_lo_u32 v13, s15, v10
	v_mul_lo_u32 v20, s14, v11
	v_mad_u64_u32 v[30:31], s[2:3], s14, v10, 0
	v_mad_u64_u32 v[32:33], s[2:3], s12, v12, 0
	v_add3_u32 v31, v31, v20, v13
	v_mov_b32_e32 v20, v33
	v_mad_u64_u32 v[12:13], s[2:3], s13, v12, v[20:21]
	s_mul_i32 s2, s17, s33
	s_mul_hi_u32 s3, s16, s33
	v_lshlrev_b64 v[18:19], 2, v[18:19]
	v_mov_b32_e32 v33, v12
	s_add_i32 s3, s3, s2
	s_mul_i32 s2, s16, s33
	v_lshl_add_u64 v[30:31], v[30:31], 2, v[18:19]
	v_lshlrev_b64 v[12:13], 2, v[32:33]
	s_lshl_b64 s[2:3], s[2:3], 2
	v_sub_co_u32_e32 v32, vcc, v4, v0
	v_lshl_add_u64 v[30:31], v[30:31], 0, v[12:13]
	s_sub_u32 s8, 0, s2
	v_subbrev_co_u32_e32 v33, vcc, 0, v5, vcc
	v_lshl_add_u64 v[30:31], s[24:25], 0, v[30:31]
	s_subb_u32 s9, 0, s3
	v_lshl_add_u64 v[34:35], v[32:33], 0, -1
	s_mov_b64 s[2:3], s[28:29]
	s_branch .LBB15_8
.LBB15_7:                               ;   in Loop: Header=BB15_8 Depth=1
	s_or_b64 exec, exec, s[12:13]
	s_sub_u32 s2, s2, s33
	s_subb_u32 s3, s3, 0
	v_cmp_lt_i64_e64 s[12:13], s[2:3], 0
	v_lshl_add_u64 v[30:31], v[30:31], 0, s[8:9]
	s_and_b64 vcc, exec, s[12:13]
	s_cbranch_vccnz .LBB15_16
.LBB15_8:                               ; =>This Inner Loop Header: Depth=1
	v_cmp_ne_u64_e32 vcc, s[2:3], v[32:33]
                                        ; implicit-def: $vgpr20
	s_and_saveexec_b64 s[12:13], vcc
	s_xor_b64 s[12:13], exec, s[12:13]
	s_cbranch_execz .LBB15_12
; %bb.9:                                ;   in Loop: Header=BB15_8 Depth=1
	v_cmp_eq_u64_e32 vcc, s[2:3], v[34:35]
	s_waitcnt vmcnt(0)
	v_mov_b32_e32 v20, 0xff800000
	s_and_saveexec_b64 s[18:19], vcc
	s_cbranch_execz .LBB15_11
; %bb.10:                               ;   in Loop: Header=BB15_8 Depth=1
	global_load_dword v20, v[28:29], off
	s_waitcnt vmcnt(0)
	v_ashrrev_i32_e32 v36, 31, v20
	v_mul_lo_u32 v38, s11, v20
	v_mul_lo_u32 v39, s10, v36
	v_mad_u64_u32 v[36:37], s[34:35], s10, v20, 0
	v_add3_u32 v37, v37, v39, v38
	v_lshl_add_u64 v[36:37], v[36:37], 2, v[16:17]
	global_load_dword v20, v[36:37], off
.LBB15_11:                              ;   in Loop: Header=BB15_8 Depth=1
	s_or_b64 exec, exec, s[18:19]
.LBB15_12:                              ;   in Loop: Header=BB15_8 Depth=1
	s_andn2_saveexec_b64 s[12:13], s[12:13]
	s_cbranch_execz .LBB15_14
; %bb.13:                               ;   in Loop: Header=BB15_8 Depth=1
	global_load_dword v20, v[26:27], off
.LBB15_14:                              ;   in Loop: Header=BB15_8 Depth=1
	s_or_b64 exec, exec, s[12:13]
	v_lshl_add_u64 v[36:37], v[0:1], 0, s[2:3]
	v_cmp_ge_i64_e32 vcc, s[22:23], v[36:37]
	s_and_saveexec_b64 s[12:13], vcc
	s_cbranch_execz .LBB15_7
; %bb.15:                               ;   in Loop: Header=BB15_8 Depth=1
	s_waitcnt vmcnt(0)
	global_store_dword v[30:31], v20, off
	s_branch .LBB15_7
.LBB15_16:
	s_load_dwordx2 s[38:39], s[0:1], 0x18
	v_cmp_lt_i64_e64 s[0:1], 0, v[14:15]
	v_cmp_ne_u64_e64 s[2:3], 0, v[14:15]
	v_lshl_add_u64 v[26:27], v[24:25], 2, 4
	s_waitcnt vmcnt(0)
	v_mul_lo_u32 v20, s16, v27
	s_waitcnt lgkmcnt(0)
	s_add_u32 s12, s38, -2
	s_addc_u32 s13, s39, -1
	s_mul_hi_u32 s34, s14, s12
	s_mul_i32 s35, s14, s13
	s_add_i32 s34, s34, s35
	s_mul_i32 s35, s15, s12
	s_add_i32 s35, s34, s35
	s_mul_i32 s34, s14, s12
	s_lshl_b64 s[34:35], s[34:35], 2
	s_add_u32 s34, s24, s34
	s_addc_u32 s35, s25, s35
	v_lshl_add_u64 v[14:15], s[34:35], 0, v[18:19]
	s_lshl_b64 s[34:35], s[14:15], 2
	s_sub_u32 s34, 0, s34
	s_subb_u32 s35, 0, s35
	s_add_u32 s36, s38, -1
	v_cmp_gt_i64_e64 s[18:19], s[38:39], 1
	s_addc_u32 s38, s39, -1
	s_mul_i32 s38, s14, s38
	s_mul_hi_u32 s39, s14, s36
	s_add_i32 s38, s39, s38
	s_mul_i32 s15, s15, s36
	s_add_i32 s15, s38, s15
	s_mul_i32 s14, s14, s36
	s_lshl_b64 s[14:15], s[14:15], 2
	s_add_u32 s14, s24, s14
	s_addc_u32 s15, s25, s15
	v_mov_b64_e32 v[16:17], s[14:15]
	v_mad_u64_u32 v[16:17], s[24:25], s16, v26, v[16:17]
	v_mul_lo_u32 v25, s17, v26
	v_add3_u32 v17, v25, v17, v20
	v_mov_b32_e32 v20, s37
	v_subb_co_u32_e64 v25, vcc, v21, v20, s[4:5]
	v_lshl_add_u64 v[20:21], v[24:25], 0, 2
	v_mul_lo_u32 v24, s17, v20
	v_mul_lo_u32 v25, s16, v21
	v_mad_u64_u32 v[20:21], s[4:5], s16, v20, 0
	s_mul_i32 s4, s6, s13
	s_mul_hi_u32 s5, s6, s12
	s_add_i32 s4, s5, s4
	s_mul_i32 s5, s7, s12
	s_add_i32 s5, s4, s5
	s_mul_i32 s4, s6, s12
	s_lshl_b64 s[4:5], s[4:5], 2
	s_add_u32 s4, s26, s4
	s_addc_u32 s5, s27, s5
	v_add3_u32 v21, v21, v25, v24
	v_lshl_add_u64 v[22:23], v[22:23], 2, s[4:5]
	s_lshl_b64 s[10:11], s[10:11], 2
	s_lshl_b64 s[4:5], s[6:7], 2
	v_lshl_add_u64 v[18:19], s[14:15], 0, v[18:19]
	v_lshl_add_u64 v[20:21], v[20:21], 2, s[14:15]
	s_sub_u32 s14, 0, s4
	s_subb_u32 s15, 0, s5
	s_mov_b32 s46, 0xff800000
	s_mov_b32 s47, 0x3fb8aa3b
	;; [unrolled: 1-line block ×7, first 2 shown]
	v_mov_b32_e32 v34, 0x7f800000
	v_mov_b32_e32 v35, 0x41b17218
	s_branch .LBB15_18
.LBB15_17:                              ;   in Loop: Header=BB15_18 Depth=1
	s_sub_u32 s28, s28, s33
	s_subb_u32 s29, s29, 0
	v_cmp_lt_i64_e64 s[4:5], s[28:29], 0
	v_lshl_add_u64 v[14:15], v[14:15], 0, s[8:9]
	v_lshl_add_u64 v[16:17], v[16:17], 0, s[8:9]
	;; [unrolled: 1-line block ×4, first 2 shown]
	s_and_b64 vcc, exec, s[4:5]
	s_cbranch_vccnz .LBB15_43
.LBB15_18:                              ; =>This Loop Header: Depth=1
                                        ;     Child Loop BB15_29 Depth 2
	v_lshl_add_u64 v[24:25], s[28:29], 0, v[0:1]
	v_cmp_le_i64_e64 s[6:7], v[24:25], v[4:5]
	s_and_b64 s[4:5], s[0:1], s[6:7]
	v_mov_b64_e32 v[26:27], s[30:31]
	s_mov_b64 s[16:17], 0
	s_and_saveexec_b64 s[24:25], s[4:5]
	s_cbranch_execz .LBB15_26
; %bb.19:                               ;   in Loop: Header=BB15_18 Depth=1
	v_and_b32_e32 v26, 1, v24
	v_cmp_eq_u32_e32 vcc, 1, v26
	v_mov_b64_e32 v[26:27], s[30:31]
	s_and_saveexec_b64 s[4:5], vcc
	s_cbranch_execz .LBB15_21
; %bb.20:                               ;   in Loop: Header=BB15_18 Depth=1
	v_alignbit_b32 v26, v25, v24, 1
	v_lshrrev_b32_e32 v29, 1, v25
	v_mul_lo_u32 v28, v26, s21
	v_mad_u64_u32 v[26:27], s[16:17], v26, s20, 0
	v_mul_lo_u32 v29, v29, s20
	v_add3_u32 v27, v27, v28, v29
	v_lshl_add_u64 v[26:27], v[26:27], 2, v[8:9]
	global_load_dword v26, v[26:27], off
	s_waitcnt vmcnt(0)
	v_ashrrev_i32_e32 v27, 31, v26
.LBB15_21:                              ;   in Loop: Header=BB15_18 Depth=1
	s_or_b64 exec, exec, s[4:5]
	v_cmp_lt_i64_e64 s[4:5], v[24:25], v[6:7]
	s_mov_b64 s[26:27], 0
	s_and_saveexec_b64 s[16:17], s[4:5]
	s_cbranch_execz .LBB15_25
; %bb.22:                               ;   in Loop: Header=BB15_18 Depth=1
	v_mov_b64_e32 v[28:29], s[30:31]
	s_and_saveexec_b64 s[4:5], vcc
	s_cbranch_execz .LBB15_24
; %bb.23:                               ;   in Loop: Header=BB15_18 Depth=1
	v_lshl_add_u64 v[28:29], v[24:25], 0, 2
	v_alignbit_b32 v28, v29, v28, 1
	v_mul_lo_u32 v32, v28, s21
	v_mad_u64_u32 v[30:31], s[26:27], v28, s20, 0
	v_lshrrev_b32_e32 v28, 1, v29
	v_mul_lo_u32 v28, v28, s20
	v_add3_u32 v31, v31, v32, v28
	v_lshl_add_u64 v[28:29], v[30:31], 2, v[8:9]
	global_load_dword v28, v[28:29], off
	s_waitcnt vmcnt(0)
	v_ashrrev_i32_e32 v29, 31, v28
.LBB15_24:                              ;   in Loop: Header=BB15_18 Depth=1
	s_or_b64 exec, exec, s[4:5]
	v_cmp_ne_u64_e32 vcc, v[28:29], v[26:27]
	s_and_b64 s[26:27], vcc, exec
.LBB15_25:                              ;   in Loop: Header=BB15_18 Depth=1
	s_or_b64 exec, exec, s[16:17]
	s_and_b64 s[16:17], s[26:27], exec
.LBB15_26:                              ;   in Loop: Header=BB15_18 Depth=1
	s_or_b64 exec, exec, s[24:25]
	s_andn2_b64 vcc, exec, s[18:19]
	s_cbranch_vccnz .LBB15_17
; %bb.27:                               ;   in Loop: Header=BB15_18 Depth=1
	v_cmp_gt_i64_e64 s[4:5], 1, v[24:25]
	v_cmp_lt_i64_e32 vcc, s[22:23], v[24:25]
	s_or_b64 s[24:25], s[2:3], s[4:5]
	v_cmp_lt_i64_e64 s[4:5], v[24:25], v[4:5]
	v_mad_u64_u32 v[24:25], s[26:27], s10, v26, v[22:23]
	v_mul_lo_u32 v27, s10, v27
	v_mul_lo_u32 v26, s11, v26
	s_and_b64 s[24:25], s[24:25], s[6:7]
	v_add3_u32 v25, v26, v25, v27
	s_xor_b64 s[26:27], s[6:7], -1
	v_mov_b64_e32 v[26:27], v[20:21]
	v_mov_b64_e32 v[28:29], v[18:19]
	;; [unrolled: 1-line block ×4, first 2 shown]
	s_mov_b64 s[36:37], s[12:13]
	s_branch .LBB15_29
.LBB15_28:                              ;   in Loop: Header=BB15_29 Depth=2
	s_or_b64 exec, exec, s[6:7]
	s_add_u32 s36, s36, -1
	s_addc_u32 s37, s37, -1
	v_lshl_add_u64 v[32:33], v[32:33], 0, s[34:35]
	v_lshl_add_u64 v[30:31], v[30:31], 0, s[34:35]
	;; [unrolled: 1-line block ×4, first 2 shown]
	s_cmp_eq_u64 s[36:37], -1
	v_lshl_add_u64 v[24:25], v[24:25], 0, s[14:15]
	s_cbranch_scc1 .LBB15_17
.LBB15_29:                              ;   Parent Loop BB15_18 Depth=1
                                        ; =>  This Inner Loop Header: Depth=2
	v_cmp_ge_i64_e64 s[6:7], s[36:37], v[10:11]
	s_or_b64 s[6:7], s[26:27], s[6:7]
	s_mov_b64 s[38:39], 0
	s_barrier
	s_and_saveexec_b64 s[40:41], s[6:7]
	s_xor_b64 s[40:41], exec, s[40:41]
	s_cbranch_execnz .LBB15_32
; %bb.30:                               ;   in Loop: Header=BB15_29 Depth=2
	s_or_saveexec_b64 s[40:41], s[40:41]
	v_mov_b32_e32 v36, 0xff800000
	s_xor_b64 exec, exec, s[40:41]
	s_cbranch_execnz .LBB15_33
.LBB15_31:                              ;   in Loop: Header=BB15_29 Depth=2
	s_or_b64 exec, exec, s[40:41]
	s_and_saveexec_b64 s[6:7], s[38:39]
	s_cbranch_execz .LBB15_28
	s_branch .LBB15_42
.LBB15_32:                              ;   in Loop: Header=BB15_29 Depth=2
	v_cmp_lt_i64_e64 s[6:7], s[36:37], v[2:3]
	s_and_b64 s[6:7], s[6:7], s[24:25]
	s_nor_b64 s[6:7], vcc, s[6:7]
	s_and_b64 s[38:39], s[6:7], exec
	s_or_saveexec_b64 s[40:41], s[40:41]
	v_mov_b32_e32 v36, 0xff800000
	s_xor_b64 exec, exec, s[40:41]
	s_cbranch_execz .LBB15_31
.LBB15_33:                              ;   in Loop: Header=BB15_29 Depth=2
	v_lshl_add_u64 v[36:37], v[28:29], 0, v[12:13]
	global_load_dword v36, v[36:37], off
	v_mov_b32_e32 v37, 0xff800000
	v_mov_b32_e32 v38, 0xff800000
	s_waitcnt vmcnt(0)
	v_mov_b32_e32 v39, v36
	s_and_saveexec_b64 s[42:43], s[4:5]
	s_cbranch_execz .LBB15_37
; %bb.34:                               ;   in Loop: Header=BB15_29 Depth=2
	v_lshl_add_u64 v[38:39], v[30:31], 0, v[12:13]
	global_load_dword v38, v[38:39], off
	v_mov_b32_e32 v39, v36
	s_waitcnt vmcnt(0)
	v_cmp_gt_f32_e64 s[6:7], v38, v36
	s_and_saveexec_b64 s[44:45], s[6:7]
; %bb.35:                               ;   in Loop: Header=BB15_29 Depth=2
	v_mov_b32_e32 v39, v38
; %bb.36:                               ;   in Loop: Header=BB15_29 Depth=2
	s_or_b64 exec, exec, s[44:45]
.LBB15_37:                              ;   in Loop: Header=BB15_29 Depth=2
	s_or_b64 exec, exec, s[42:43]
	s_and_saveexec_b64 s[42:43], s[16:17]
	s_cbranch_execz .LBB15_41
; %bb.38:                               ;   in Loop: Header=BB15_29 Depth=2
	v_lshl_add_u64 v[40:41], v[26:27], 0, v[12:13]
	global_load_dword v37, v[40:41], off
	s_waitcnt vmcnt(0)
	v_cmp_gt_f32_e64 s[6:7], v37, v39
	s_and_saveexec_b64 s[44:45], s[6:7]
; %bb.39:                               ;   in Loop: Header=BB15_29 Depth=2
	v_mov_b32_e32 v39, v37
; %bb.40:                               ;   in Loop: Header=BB15_29 Depth=2
	s_or_b64 exec, exec, s[44:45]
.LBB15_41:                              ;   in Loop: Header=BB15_29 Depth=2
	s_or_b64 exec, exec, s[42:43]
	global_load_dword v40, v[24:25], off
	v_cmp_neq_f32_e64 s[6:7], s46, v39
	s_or_b64 s[38:39], s[38:39], exec
	s_nop 0
	v_cndmask_b32_e64 v39, 0, v39, s[6:7]
	v_sub_f32_e32 v36, v36, v39
	v_sub_f32_e32 v38, v38, v39
	v_mul_f32_e32 v41, 0x3fb8aa3b, v36
	v_sub_f32_e32 v37, v37, v39
	v_mul_f32_e32 v42, 0x3fb8aa3b, v38
	v_fma_f32 v44, v36, s47, -v41
	v_rndne_f32_e32 v45, v41
	v_mul_f32_e32 v43, 0x3fb8aa3b, v37
	v_fma_f32 v46, v38, s47, -v42
	v_rndne_f32_e32 v47, v42
	v_fmac_f32_e32 v44, 0x32a5705f, v36
	v_sub_f32_e32 v41, v41, v45
	v_fma_f32 v48, v37, s47, -v43
	v_rndne_f32_e32 v49, v43
	v_fmac_f32_e32 v46, 0x32a5705f, v38
	v_sub_f32_e32 v42, v42, v47
	v_add_f32_e32 v41, v41, v44
	v_cvt_i32_f32_e32 v45, v45
	v_fmac_f32_e32 v48, 0x32a5705f, v37
	v_sub_f32_e32 v43, v43, v49
	v_add_f32_e32 v42, v42, v46
	v_exp_f32_e32 v41, v41
	v_cvt_i32_f32_e32 v47, v47
	v_add_f32_e32 v43, v43, v48
	v_exp_f32_e32 v42, v42
	v_cvt_i32_f32_e32 v49, v49
	v_exp_f32_e32 v43, v43
	v_ldexp_f32 v41, v41, v45
	v_cmp_ngt_f32_e64 s[6:7], s48, v36
	v_ldexp_f32 v42, v42, v47
	v_ldexp_f32 v43, v43, v49
	v_cndmask_b32_e64 v41, 0, v41, s[6:7]
	v_cmp_ngt_f32_e64 s[6:7], s48, v38
	s_nop 1
	v_cndmask_b32_e64 v42, 0, v42, s[6:7]
	v_cmp_ngt_f32_e64 s[6:7], s48, v37
	s_nop 1
	v_cndmask_b32_e64 v43, 0, v43, s[6:7]
	v_cmp_nlt_f32_e64 s[6:7], s49, v36
	s_nop 1
	v_cndmask_b32_e64 v36, v34, v41, s[6:7]
	v_cmp_nlt_f32_e64 s[6:7], s49, v38
	;; [unrolled: 3-line block ×3, first 2 shown]
	v_add_f32_e32 v36, v36, v38
	s_nop 0
	v_cndmask_b32_e64 v37, v34, v43, s[6:7]
	v_add_f32_e32 v36, v37, v36
	v_cmp_gt_f32_e64 s[6:7], s51, v36
	s_nop 1
	v_cndmask_b32_e64 v37, 0, 32, s[6:7]
	v_ldexp_f32 v36, v36, v37
	v_log_f32_e32 v36, v36
	v_cndmask_b32_e64 v37, 0, v35, s[6:7]
	v_mul_f32_e32 v38, 0x3f317217, v36
	v_fma_f32 v38, v36, s52, -v38
	v_fmac_f32_e32 v38, 0x3377d1cf, v36
	v_fmac_f32_e32 v38, 0x3f317217, v36
	v_cmp_lt_f32_e64 s[6:7], |v36|, s50
	s_nop 1
	v_cndmask_b32_e64 v36, v36, v38, s[6:7]
	v_sub_f32_e32 v36, v36, v37
	v_add_f32_e32 v36, v39, v36
	s_waitcnt vmcnt(0)
	v_add_f32_e32 v36, v40, v36
	s_or_b64 exec, exec, s[40:41]
	s_and_saveexec_b64 s[6:7], s[38:39]
	s_cbranch_execz .LBB15_28
.LBB15_42:                              ;   in Loop: Header=BB15_29 Depth=2
	v_lshl_add_u64 v[38:39], v[32:33], 0, v[12:13]
	global_store_dword v[38:39], v36, off
	s_branch .LBB15_28
.LBB15_43:
	s_endpgm
.LBB15_44:
                                        ; implicit-def: $sgpr36_sgpr37
	s_branch .LBB15_4
	.section	.rodata,"a",@progbits
	.p2align	6, 0x0
	.amdhsa_kernel _ZN2at6native12_GLOBAL__N_137ctc_loss_backward_log_beta_gpu_kernelIfiEEvPT_PKS3_PKllPKT0_S8_lllllllS8_lll
		.amdhsa_group_segment_fixed_size 0
		.amdhsa_private_segment_fixed_size 0
		.amdhsa_kernarg_size 392
		.amdhsa_user_sgpr_count 2
		.amdhsa_user_sgpr_dispatch_ptr 0
		.amdhsa_user_sgpr_queue_ptr 0
		.amdhsa_user_sgpr_kernarg_segment_ptr 1
		.amdhsa_user_sgpr_dispatch_id 0
		.amdhsa_user_sgpr_kernarg_preload_length 0
		.amdhsa_user_sgpr_kernarg_preload_offset 0
		.amdhsa_user_sgpr_private_segment_size 0
		.amdhsa_uses_dynamic_stack 0
		.amdhsa_enable_private_segment 0
		.amdhsa_system_sgpr_workgroup_id_x 1
		.amdhsa_system_sgpr_workgroup_id_y 1
		.amdhsa_system_sgpr_workgroup_id_z 0
		.amdhsa_system_sgpr_workgroup_info 0
		.amdhsa_system_vgpr_workitem_id 1
		.amdhsa_next_free_vgpr 50
		.amdhsa_next_free_sgpr 53
		.amdhsa_accum_offset 52
		.amdhsa_reserve_vcc 1
		.amdhsa_float_round_mode_32 0
		.amdhsa_float_round_mode_16_64 0
		.amdhsa_float_denorm_mode_32 3
		.amdhsa_float_denorm_mode_16_64 3
		.amdhsa_dx10_clamp 1
		.amdhsa_ieee_mode 1
		.amdhsa_fp16_overflow 0
		.amdhsa_tg_split 0
		.amdhsa_exception_fp_ieee_invalid_op 0
		.amdhsa_exception_fp_denorm_src 0
		.amdhsa_exception_fp_ieee_div_zero 0
		.amdhsa_exception_fp_ieee_overflow 0
		.amdhsa_exception_fp_ieee_underflow 0
		.amdhsa_exception_fp_ieee_inexact 0
		.amdhsa_exception_int_div_zero 0
	.end_amdhsa_kernel
	.section	.text._ZN2at6native12_GLOBAL__N_137ctc_loss_backward_log_beta_gpu_kernelIfiEEvPT_PKS3_PKllPKT0_S8_lllllllS8_lll,"axG",@progbits,_ZN2at6native12_GLOBAL__N_137ctc_loss_backward_log_beta_gpu_kernelIfiEEvPT_PKS3_PKllPKT0_S8_lllllllS8_lll,comdat
.Lfunc_end15:
	.size	_ZN2at6native12_GLOBAL__N_137ctc_loss_backward_log_beta_gpu_kernelIfiEEvPT_PKS3_PKllPKT0_S8_lllllllS8_lll, .Lfunc_end15-_ZN2at6native12_GLOBAL__N_137ctc_loss_backward_log_beta_gpu_kernelIfiEEvPT_PKS3_PKllPKT0_S8_lllllllS8_lll
                                        ; -- End function
	.set _ZN2at6native12_GLOBAL__N_137ctc_loss_backward_log_beta_gpu_kernelIfiEEvPT_PKS3_PKllPKT0_S8_lllllllS8_lll.num_vgpr, 50
	.set _ZN2at6native12_GLOBAL__N_137ctc_loss_backward_log_beta_gpu_kernelIfiEEvPT_PKS3_PKllPKT0_S8_lllllllS8_lll.num_agpr, 0
	.set _ZN2at6native12_GLOBAL__N_137ctc_loss_backward_log_beta_gpu_kernelIfiEEvPT_PKS3_PKllPKT0_S8_lllllllS8_lll.numbered_sgpr, 53
	.set _ZN2at6native12_GLOBAL__N_137ctc_loss_backward_log_beta_gpu_kernelIfiEEvPT_PKS3_PKllPKT0_S8_lllllllS8_lll.num_named_barrier, 0
	.set _ZN2at6native12_GLOBAL__N_137ctc_loss_backward_log_beta_gpu_kernelIfiEEvPT_PKS3_PKllPKT0_S8_lllllllS8_lll.private_seg_size, 0
	.set _ZN2at6native12_GLOBAL__N_137ctc_loss_backward_log_beta_gpu_kernelIfiEEvPT_PKS3_PKllPKT0_S8_lllllllS8_lll.uses_vcc, 1
	.set _ZN2at6native12_GLOBAL__N_137ctc_loss_backward_log_beta_gpu_kernelIfiEEvPT_PKS3_PKllPKT0_S8_lllllllS8_lll.uses_flat_scratch, 0
	.set _ZN2at6native12_GLOBAL__N_137ctc_loss_backward_log_beta_gpu_kernelIfiEEvPT_PKS3_PKllPKT0_S8_lllllllS8_lll.has_dyn_sized_stack, 0
	.set _ZN2at6native12_GLOBAL__N_137ctc_loss_backward_log_beta_gpu_kernelIfiEEvPT_PKS3_PKllPKT0_S8_lllllllS8_lll.has_recursion, 0
	.set _ZN2at6native12_GLOBAL__N_137ctc_loss_backward_log_beta_gpu_kernelIfiEEvPT_PKS3_PKllPKT0_S8_lllllllS8_lll.has_indirect_call, 0
	.section	.AMDGPU.csdata,"",@progbits
; Kernel info:
; codeLenInByte = 3112
; TotalNumSgprs: 59
; NumVgprs: 50
; NumAgprs: 0
; TotalNumVgprs: 50
; ScratchSize: 0
; MemoryBound: 0
; FloatMode: 240
; IeeeMode: 1
; LDSByteSize: 0 bytes/workgroup (compile time only)
; SGPRBlocks: 7
; VGPRBlocks: 6
; NumSGPRsForWavesPerEU: 59
; NumVGPRsForWavesPerEU: 50
; AccumOffset: 52
; Occupancy: 8
; WaveLimiterHint : 1
; COMPUTE_PGM_RSRC2:SCRATCH_EN: 0
; COMPUTE_PGM_RSRC2:USER_SGPR: 2
; COMPUTE_PGM_RSRC2:TRAP_HANDLER: 0
; COMPUTE_PGM_RSRC2:TGID_X_EN: 1
; COMPUTE_PGM_RSRC2:TGID_Y_EN: 1
; COMPUTE_PGM_RSRC2:TGID_Z_EN: 0
; COMPUTE_PGM_RSRC2:TIDIG_COMP_CNT: 1
; COMPUTE_PGM_RSRC3_GFX90A:ACCUM_OFFSET: 12
; COMPUTE_PGM_RSRC3_GFX90A:TG_SPLIT: 0
	.section	.text._ZN2at6native12_GLOBAL__N_145ctc_loss_backward_collect_nonblank_gpu_kernelIfiEEvPT_PKS3_lS6_S6_S6_PKlPKT0_S8_S6_llllllllllllS8_llb,"axG",@progbits,_ZN2at6native12_GLOBAL__N_145ctc_loss_backward_collect_nonblank_gpu_kernelIfiEEvPT_PKS3_lS6_S6_S6_PKlPKT0_S8_S6_llllllllllllS8_llb,comdat
	.globl	_ZN2at6native12_GLOBAL__N_145ctc_loss_backward_collect_nonblank_gpu_kernelIfiEEvPT_PKS3_lS6_S6_S6_PKlPKT0_S8_S6_llllllllllllS8_llb ; -- Begin function _ZN2at6native12_GLOBAL__N_145ctc_loss_backward_collect_nonblank_gpu_kernelIfiEEvPT_PKS3_lS6_S6_S6_PKlPKT0_S8_S6_llllllllllllS8_llb
	.p2align	8
	.type	_ZN2at6native12_GLOBAL__N_145ctc_loss_backward_collect_nonblank_gpu_kernelIfiEEvPT_PKS3_lS6_S6_S6_PKlPKT0_S8_S6_llllllllllllS8_llb,@function
_ZN2at6native12_GLOBAL__N_145ctc_loss_backward_collect_nonblank_gpu_kernelIfiEEvPT_PKS3_lS6_S6_S6_PKlPKT0_S8_S6_llllllllllllS8_llb: ; @_ZN2at6native12_GLOBAL__N_145ctc_loss_backward_collect_nonblank_gpu_kernelIfiEEvPT_PKS3_lS6_S6_S6_PKlPKT0_S8_S6_llllllllllllS8_llb
; %bb.0:
	s_load_dword s8, s[0:1], 0xdc
	s_load_dwordx4 s[4:7], s[0:1], 0xb8
	v_bfe_u32 v1, v0, 10, 10
	v_mov_b32_e32 v3, 0
	s_waitcnt lgkmcnt(0)
	s_lshr_b32 s9, s8, 16
	s_mul_i32 s3, s3, s9
	v_add_u32_e32 v2, s3, v1
	v_cmp_gt_i64_e32 vcc, s[6:7], v[2:3]
	s_and_saveexec_b64 s[6:7], vcc
	s_cbranch_execz .LBB16_5
; %bb.1:
	s_load_dwordx2 s[6:7], s[0:1], 0x40
	v_and_b32_e32 v0, 0x3ff, v0
	v_mov_b32_e32 v1, v3
	s_and_b32 s3, s8, 0xffff
	s_waitcnt lgkmcnt(0)
	v_lshl_add_u64 v[4:5], v[2:3], 3, s[6:7]
	global_load_dwordx2 v[6:7], v[4:5], off
	v_mov_b32_e32 v4, s2
	v_mad_u64_u32 v[4:5], s[2:3], s3, v4, v[0:1]
	s_waitcnt vmcnt(0)
	v_cmp_lt_i64_e32 vcc, v[4:5], v[6:7]
	s_and_b64 exec, exec, vcc
	s_cbranch_execz .LBB16_5
; %bb.2:
	s_load_dwordx2 s[2:3], s[0:1], 0x48
	s_load_dword s8, s[0:1], 0xc8
	s_load_dwordx2 s[6:7], s[0:1], 0x30
	s_mov_b32 s9, 0x7f800000
	s_waitcnt lgkmcnt(0)
	v_lshl_add_u64 v[0:1], v[2:3], 2, s[2:3]
	global_load_dword v10, v[0:1], off
	v_lshl_add_u64 v[0:1], v[2:3], 3, s[6:7]
	global_load_dwordx2 v[0:1], v[0:1], off
	s_bitcmp1_b32 s8, 0
	s_cselect_b64 s[6:7], -1, 0
	s_xor_b64 s[6:7], s[6:7], -1
	s_mov_b64 s[2:3], 0
	s_waitcnt vmcnt(1)
	v_cmp_neq_f32_e32 vcc, s9, v10
	s_or_b64 s[6:7], s[6:7], vcc
	s_waitcnt vmcnt(0)
	v_cmp_lt_i64_e32 vcc, 0, v[0:1]
	s_and_b64 s[6:7], s[6:7], vcc
	s_and_b64 exec, exec, s[6:7]
	s_cbranch_execz .LBB16_5
; %bb.3:
	s_load_dwordx2 s[6:7], s[0:1], 0xb0
	s_load_dwordx8 s[20:27], s[0:1], 0x0
	v_mul_lo_u32 v11, v4, s5
	s_waitcnt lgkmcnt(0)
	v_lshl_add_u64 v[6:7], v[2:3], 3, s[6:7]
	global_load_dwordx2 v[6:7], v[6:7], off
	s_load_dwordx2 s[6:7], s[0:1], 0x38
	v_mul_lo_u32 v3, v5, s4
	v_mad_u64_u32 v[8:9], s[4:5], v4, s4, 0
	v_add3_u32 v9, v9, v11, v3
	v_lshlrev_b64 v[4:5], 1, v[4:5]
	v_or_b32_e32 v3, 1, v4
	s_waitcnt vmcnt(0) lgkmcnt(0)
	v_lshl_add_u64 v[6:7], v[6:7], 2, s[6:7]
	v_lshl_add_u64 v[6:7], v[8:9], 2, v[6:7]
	global_load_dword v25, v[6:7], off
	v_mad_u64_u32 v[6:7], s[4:5], s24, v2, 0
	v_mov_b32_e32 v8, v7
	v_mad_u64_u32 v[8:9], s[4:5], s25, v2, v[8:9]
	v_mov_b32_e32 v7, v8
	v_lshl_add_u64 v[6:7], v[6:7], 2, s[22:23]
	global_load_dword v11, v[6:7], off
	s_load_dwordx4 s[28:31], s[0:1], 0x20
	s_load_dwordx16 s[4:19], s[0:1], 0x50
	s_load_dwordx8 s[36:43], s[0:1], 0x90
	s_mov_b32 s22, 0x3fb8aa3b
	s_mov_b32 s23, 0xc2ce8ed0
	;; [unrolled: 1-line block ×3, first 2 shown]
	s_waitcnt lgkmcnt(0)
	v_mad_u64_u32 v[6:7], s[0:1], s6, v2, 0
	v_mad_u64_u32 v[8:9], s[0:1], s12, v2, 0
	;; [unrolled: 1-line block ×4, first 2 shown]
	v_mul_lo_u32 v19, v5, s36
	v_mul_lo_u32 v21, v3, s37
	v_mad_u64_u32 v[16:17], s[0:1], v3, s36, 0
	v_mul_lo_u32 v23, v5, s42
	v_mul_lo_u32 v26, v3, s43
	v_mad_u64_u32 v[4:5], s[0:1], v3, s42, 0
	v_mov_b32_e32 v18, v7
	v_mov_b32_e32 v20, v9
	v_mov_b32_e32 v22, v13
	v_mov_b32_e32 v24, v15
	v_add3_u32 v17, v17, v21, v19
	v_add3_u32 v5, v5, v26, v23
	v_mad_u64_u32 v[18:19], s[6:7], s7, v2, v[18:19]
	v_mad_u64_u32 v[20:21], s[6:7], s13, v2, v[20:21]
	;; [unrolled: 1-line block ×3, first 2 shown]
	v_mov_b32_e32 v7, v18
	v_mov_b32_e32 v13, v22
	v_lshl_add_u64 v[18:19], v[6:7], 2, s[20:21]
	v_mov_b32_e32 v9, v20
	v_lshl_add_u64 v[8:9], v[8:9], 2, s[30:31]
	s_lshl_b64 s[0:1], s[40:41], 2
	s_lshl_b64 s[18:19], s[18:19], 2
	;; [unrolled: 1-line block ×4, first 2 shown]
	s_waitcnt vmcnt(1)
	v_mad_u64_u32 v[2:3], s[6:7], s39, v2, v[24:25]
	v_mov_b32_e32 v15, v2
	v_lshl_add_u64 v[2:3], v[12:13], 2, s[26:27]
	v_lshl_add_u64 v[6:7], v[14:15], 2, s[28:29]
	v_ashrrev_i32_e32 v14, 31, v25
	v_lshl_add_u64 v[2:3], v[16:17], 2, v[2:3]
	v_lshl_add_u64 v[4:5], v[4:5], 2, v[6:7]
	v_mul_lo_u32 v15, s15, v25
	v_mad_u64_u32 v[6:7], s[6:7], s14, v25, 0
	v_mul_lo_u32 v16, s9, v25
	v_mad_u64_u32 v[12:13], s[6:7], s8, v25, 0
	v_mul_lo_u32 v17, s14, v14
	v_mul_lo_u32 v14, s8, v14
	v_add3_u32 v7, v7, v17, v15
	v_add3_u32 v13, v13, v14, v16
	v_lshl_add_u64 v[6:7], v[6:7], 2, v[8:9]
	v_lshl_add_u64 v[8:9], v[12:13], 2, v[18:19]
	v_mov_b32_e32 v12, 0x7f800000
.LBB16_4:                               ; =>This Inner Loop Header: Depth=1
	global_load_dword v13, v[2:3], off
	global_load_dword v14, v[4:5], off
	;; [unrolled: 1-line block ×3, first 2 shown]
	v_lshl_add_u64 v[0:1], v[0:1], 0, -1
	v_lshl_add_u64 v[4:5], v[4:5], 0, s[0:1]
	v_lshl_add_u64 v[2:3], v[2:3], 0, s[18:19]
	;; [unrolled: 1-line block ×3, first 2 shown]
	s_waitcnt vmcnt(1)
	v_add_f32_e32 v13, v13, v14
	v_add_f32_e32 v13, v10, v13
	s_waitcnt vmcnt(0)
	v_sub_f32_e32 v13, v13, v15
	v_mul_f32_e32 v14, 0x3fb8aa3b, v13
	v_fma_f32 v15, v13, s22, -v14
	v_rndne_f32_e32 v16, v14
	v_fmac_f32_e32 v15, 0x32a5705f, v13
	v_sub_f32_e32 v14, v14, v16
	v_add_f32_e32 v14, v14, v15
	v_cvt_i32_f32_e32 v16, v16
	v_exp_f32_e32 v14, v14
	v_cmp_ngt_f32_e32 vcc, s23, v13
	v_ldexp_f32 v14, v14, v16
	s_nop 0
	v_cndmask_b32_e32 v14, 0, v14, vcc
	v_cmp_nlt_f32_e32 vcc, s24, v13
	s_nop 1
	v_cndmask_b32_e32 v13, v12, v14, vcc
	v_mul_f32_e64 v13, v11, -v13
	global_atomic_add_f32 v[8:9], v13, off
	v_cmp_eq_u64_e32 vcc, 0, v[0:1]
	s_or_b64 s[2:3], vcc, s[2:3]
	v_lshl_add_u64 v[8:9], v[8:9], 0, s[4:5]
	s_andn2_b64 exec, exec, s[2:3]
	s_cbranch_execnz .LBB16_4
.LBB16_5:
	s_endpgm
	.section	.rodata,"a",@progbits
	.p2align	6, 0x0
	.amdhsa_kernel _ZN2at6native12_GLOBAL__N_145ctc_loss_backward_collect_nonblank_gpu_kernelIfiEEvPT_PKS3_lS6_S6_S6_PKlPKT0_S8_S6_llllllllllllS8_llb
		.amdhsa_group_segment_fixed_size 0
		.amdhsa_private_segment_fixed_size 0
		.amdhsa_kernarg_size 464
		.amdhsa_user_sgpr_count 2
		.amdhsa_user_sgpr_dispatch_ptr 0
		.amdhsa_user_sgpr_queue_ptr 0
		.amdhsa_user_sgpr_kernarg_segment_ptr 1
		.amdhsa_user_sgpr_dispatch_id 0
		.amdhsa_user_sgpr_kernarg_preload_length 0
		.amdhsa_user_sgpr_kernarg_preload_offset 0
		.amdhsa_user_sgpr_private_segment_size 0
		.amdhsa_uses_dynamic_stack 0
		.amdhsa_enable_private_segment 0
		.amdhsa_system_sgpr_workgroup_id_x 1
		.amdhsa_system_sgpr_workgroup_id_y 1
		.amdhsa_system_sgpr_workgroup_id_z 0
		.amdhsa_system_sgpr_workgroup_info 0
		.amdhsa_system_vgpr_workitem_id 1
		.amdhsa_next_free_vgpr 27
		.amdhsa_next_free_sgpr 44
		.amdhsa_accum_offset 28
		.amdhsa_reserve_vcc 1
		.amdhsa_float_round_mode_32 0
		.amdhsa_float_round_mode_16_64 0
		.amdhsa_float_denorm_mode_32 3
		.amdhsa_float_denorm_mode_16_64 3
		.amdhsa_dx10_clamp 1
		.amdhsa_ieee_mode 1
		.amdhsa_fp16_overflow 0
		.amdhsa_tg_split 0
		.amdhsa_exception_fp_ieee_invalid_op 0
		.amdhsa_exception_fp_denorm_src 0
		.amdhsa_exception_fp_ieee_div_zero 0
		.amdhsa_exception_fp_ieee_overflow 0
		.amdhsa_exception_fp_ieee_underflow 0
		.amdhsa_exception_fp_ieee_inexact 0
		.amdhsa_exception_int_div_zero 0
	.end_amdhsa_kernel
	.section	.text._ZN2at6native12_GLOBAL__N_145ctc_loss_backward_collect_nonblank_gpu_kernelIfiEEvPT_PKS3_lS6_S6_S6_PKlPKT0_S8_S6_llllllllllllS8_llb,"axG",@progbits,_ZN2at6native12_GLOBAL__N_145ctc_loss_backward_collect_nonblank_gpu_kernelIfiEEvPT_PKS3_lS6_S6_S6_PKlPKT0_S8_S6_llllllllllllS8_llb,comdat
.Lfunc_end16:
	.size	_ZN2at6native12_GLOBAL__N_145ctc_loss_backward_collect_nonblank_gpu_kernelIfiEEvPT_PKS3_lS6_S6_S6_PKlPKT0_S8_S6_llllllllllllS8_llb, .Lfunc_end16-_ZN2at6native12_GLOBAL__N_145ctc_loss_backward_collect_nonblank_gpu_kernelIfiEEvPT_PKS3_lS6_S6_S6_PKlPKT0_S8_S6_llllllllllllS8_llb
                                        ; -- End function
	.set _ZN2at6native12_GLOBAL__N_145ctc_loss_backward_collect_nonblank_gpu_kernelIfiEEvPT_PKS3_lS6_S6_S6_PKlPKT0_S8_S6_llllllllllllS8_llb.num_vgpr, 27
	.set _ZN2at6native12_GLOBAL__N_145ctc_loss_backward_collect_nonblank_gpu_kernelIfiEEvPT_PKS3_lS6_S6_S6_PKlPKT0_S8_S6_llllllllllllS8_llb.num_agpr, 0
	.set _ZN2at6native12_GLOBAL__N_145ctc_loss_backward_collect_nonblank_gpu_kernelIfiEEvPT_PKS3_lS6_S6_S6_PKlPKT0_S8_S6_llllllllllllS8_llb.numbered_sgpr, 44
	.set _ZN2at6native12_GLOBAL__N_145ctc_loss_backward_collect_nonblank_gpu_kernelIfiEEvPT_PKS3_lS6_S6_S6_PKlPKT0_S8_S6_llllllllllllS8_llb.num_named_barrier, 0
	.set _ZN2at6native12_GLOBAL__N_145ctc_loss_backward_collect_nonblank_gpu_kernelIfiEEvPT_PKS3_lS6_S6_S6_PKlPKT0_S8_S6_llllllllllllS8_llb.private_seg_size, 0
	.set _ZN2at6native12_GLOBAL__N_145ctc_loss_backward_collect_nonblank_gpu_kernelIfiEEvPT_PKS3_lS6_S6_S6_PKlPKT0_S8_S6_llllllllllllS8_llb.uses_vcc, 1
	.set _ZN2at6native12_GLOBAL__N_145ctc_loss_backward_collect_nonblank_gpu_kernelIfiEEvPT_PKS3_lS6_S6_S6_PKlPKT0_S8_S6_llllllllllllS8_llb.uses_flat_scratch, 0
	.set _ZN2at6native12_GLOBAL__N_145ctc_loss_backward_collect_nonblank_gpu_kernelIfiEEvPT_PKS3_lS6_S6_S6_PKlPKT0_S8_S6_llllllllllllS8_llb.has_dyn_sized_stack, 0
	.set _ZN2at6native12_GLOBAL__N_145ctc_loss_backward_collect_nonblank_gpu_kernelIfiEEvPT_PKS3_lS6_S6_S6_PKlPKT0_S8_S6_llllllllllllS8_llb.has_recursion, 0
	.set _ZN2at6native12_GLOBAL__N_145ctc_loss_backward_collect_nonblank_gpu_kernelIfiEEvPT_PKS3_lS6_S6_S6_PKlPKT0_S8_S6_llllllllllllS8_llb.has_indirect_call, 0
	.section	.AMDGPU.csdata,"",@progbits
; Kernel info:
; codeLenInByte = 972
; TotalNumSgprs: 50
; NumVgprs: 27
; NumAgprs: 0
; TotalNumVgprs: 27
; ScratchSize: 0
; MemoryBound: 0
; FloatMode: 240
; IeeeMode: 1
; LDSByteSize: 0 bytes/workgroup (compile time only)
; SGPRBlocks: 6
; VGPRBlocks: 3
; NumSGPRsForWavesPerEU: 50
; NumVGPRsForWavesPerEU: 27
; AccumOffset: 28
; Occupancy: 8
; WaveLimiterHint : 1
; COMPUTE_PGM_RSRC2:SCRATCH_EN: 0
; COMPUTE_PGM_RSRC2:USER_SGPR: 2
; COMPUTE_PGM_RSRC2:TRAP_HANDLER: 0
; COMPUTE_PGM_RSRC2:TGID_X_EN: 1
; COMPUTE_PGM_RSRC2:TGID_Y_EN: 1
; COMPUTE_PGM_RSRC2:TGID_Z_EN: 0
; COMPUTE_PGM_RSRC2:TIDIG_COMP_CNT: 1
; COMPUTE_PGM_RSRC3_GFX90A:ACCUM_OFFSET: 6
; COMPUTE_PGM_RSRC3_GFX90A:TG_SPLIT: 0
	.section	.text._ZN2at6native12_GLOBAL__N_136ctc_loss_backward_collect_gpu_kernelIfiEEvPT_PKS3_lS6_S6_S6_PKllPKT0_S8_lS6_llllllllllllS8_llllb,"axG",@progbits,_ZN2at6native12_GLOBAL__N_136ctc_loss_backward_collect_gpu_kernelIfiEEvPT_PKS3_lS6_S6_S6_PKllPKT0_S8_lS6_llllllllllllS8_llllb,comdat
	.globl	_ZN2at6native12_GLOBAL__N_136ctc_loss_backward_collect_gpu_kernelIfiEEvPT_PKS3_lS6_S6_S6_PKllPKT0_S8_lS6_llllllllllllS8_llllb ; -- Begin function _ZN2at6native12_GLOBAL__N_136ctc_loss_backward_collect_gpu_kernelIfiEEvPT_PKS3_lS6_S6_S6_PKllPKT0_S8_lS6_llllllllllllS8_llllb
	.p2align	8
	.type	_ZN2at6native12_GLOBAL__N_136ctc_loss_backward_collect_gpu_kernelIfiEEvPT_PKS3_lS6_S6_S6_PKllPKT0_S8_lS6_llllllllllllS8_llllb,@function
_ZN2at6native12_GLOBAL__N_136ctc_loss_backward_collect_gpu_kernelIfiEEvPT_PKS3_lS6_S6_S6_PKllPKT0_S8_lS6_llllllllllllS8_llllb: ; @_ZN2at6native12_GLOBAL__N_136ctc_loss_backward_collect_gpu_kernelIfiEEvPT_PKS3_lS6_S6_S6_PKllPKT0_S8_lS6_llllllllllllS8_llllb
; %bb.0:
	s_load_dword s6, s[0:1], 0xfc
	s_load_dwordx2 s[4:5], s[0:1], 0x38
	s_load_dwordx8 s[20:27], s[0:1], 0xc8
	v_bfe_u32 v1, v0, 10, 10
	v_mov_b32_e32 v3, 0
	s_waitcnt lgkmcnt(0)
	s_lshr_b32 s7, s6, 16
	s_mul_i32 s3, s3, s7
	v_add_u32_e32 v2, s3, v1
	v_and_b32_e32 v0, 0x3ff, v0
	v_mov_b32_e32 v1, v3
	s_and_b32 s3, s6, 0xffff
	v_mov_b32_e32 v4, s2
	v_mad_u64_u32 v[0:1], s[2:3], s3, v4, v[0:1]
	v_cmp_gt_i64_e32 vcc, s[4:5], v[0:1]
	v_cmp_gt_i64_e64 s[2:3], s[22:23], v[2:3]
	s_and_b64 s[2:3], vcc, s[2:3]
	s_and_saveexec_b64 s[4:5], s[2:3]
	s_cbranch_execz .LBB17_15
; %bb.1:
	s_load_dwordx2 s[4:5], s[0:1], 0x30
	s_load_dwordx2 s[2:3], s[0:1], 0x50
	s_waitcnt lgkmcnt(0)
	v_lshl_add_u64 v[4:5], v[2:3], 3, s[4:5]
	global_load_dwordx2 v[6:7], v[4:5], off
	s_load_dwordx16 s[4:19], s[0:1], 0x60
	s_load_dwordx2 s[22:23], s[0:1], 0x0
	s_waitcnt lgkmcnt(0)
	v_mad_u64_u32 v[4:5], s[28:29], s6, v2, 0
	v_mov_b32_e32 v8, v5
	v_mad_u64_u32 v[8:9], s[6:7], s7, v2, v[8:9]
	v_mov_b32_e32 v5, v8
	v_cmp_lt_i64_e64 s[28:29], s[2:3], 0
	s_mov_b64 s[6:7], 0
	s_and_b64 vcc, exec, s[28:29]
	v_mul_lo_u32 v20, v1, s4
	v_mul_lo_u32 v21, v0, s5
	v_lshl_add_u64 v[4:5], v[4:5], 2, s[22:23]
	s_cbranch_vccnz .LBB17_10
; %bb.2:
	s_load_dwordx2 s[22:23], s[0:1], 0xc0
	s_load_dwordx4 s[28:31], s[0:1], 0x40
	s_load_dwordx4 s[44:47], s[0:1], 0x18
	v_lshlrev_b64 v[8:9], 3, v[2:3]
	s_load_dwordx8 s[36:43], s[0:1], 0xa0
	s_waitcnt lgkmcnt(0)
	v_lshl_add_u64 v[10:11], s[22:23], 0, v[8:9]
	v_lshl_add_u64 v[8:9], s[30:31], 0, v[8:9]
	global_load_dwordx2 v[14:15], v[8:9], off
	global_load_dwordx2 v[16:17], v[10:11], off
	s_lshl_b64 s[22:23], s[2:3], 1
	v_mad_u64_u32 v[10:11], s[2:3], s16, v2, 0
	v_mul_lo_u32 v19, v1, s18
	v_mul_lo_u32 v23, v0, s19
	v_mad_u64_u32 v[12:13], s[2:3], v0, s18, 0
	v_mov_b32_e32 v18, v11
	v_add3_u32 v13, v13, v23, v19
	v_mad_u64_u32 v[18:19], s[2:3], s17, v2, v[18:19]
	v_mov_b32_e32 v11, v18
	v_mad_u64_u32 v[18:19], s[2:3], s38, v2, 0
	v_lshl_add_u64 v[10:11], v[10:11], 2, s[44:45]
	v_mul_lo_u32 v27, v0, s41
	v_mov_b32_e32 v26, v19
	v_lshl_add_u64 v[10:11], v[12:13], 2, v[10:11]
	v_mad_u64_u32 v[12:13], s[2:3], s39, v2, v[26:27]
	v_mad_u64_u32 v[8:9], s[2:3], v0, s4, 0
	v_mul_lo_u32 v23, v1, s40
	v_mad_u64_u32 v[24:25], s[2:3], v0, s40, 0
	v_mov_b32_e32 v19, v12
	v_add3_u32 v9, v9, v21, v20
	v_add3_u32 v25, v25, v27, v23
	v_lshl_add_u64 v[12:13], v[18:19], 2, s[46:47]
	s_mov_b32 s19, 0
	s_mov_b32 s5, 0xff800000
	;; [unrolled: 1-line block ×8, first 2 shown]
	v_mov_b32_e32 v22, 0x7f800000
	v_lshl_add_u64 v[8:9], v[8:9], 2, v[4:5]
	s_lshl_b64 s[16:17], s[36:37], 2
	s_lshl_b64 s[30:31], s[42:43], 2
	v_lshl_add_u64 v[12:13], v[24:25], 2, v[12:13]
	v_mov_b32_e32 v23, 0x41b17218
	s_waitcnt vmcnt(1)
	v_lshlrev_b64 v[14:15], 1, v[14:15]
	s_waitcnt vmcnt(0)
	v_lshl_add_u64 v[16:17], v[16:17], 2, s[28:29]
	s_branch .LBB17_5
.LBB17_3:                               ;   in Loop: Header=BB17_5 Depth=1
	s_or_b64 exec, exec, s[34:35]
	global_store_dword v[18:19], v24, off
.LBB17_4:                               ;   in Loop: Header=BB17_5 Depth=1
	s_or_b64 exec, exec, s[28:29]
	s_add_u32 s6, s6, 1
	s_addc_u32 s7, s7, 0
	v_mov_b64_e32 v[18:19], s[6:7]
	v_cmp_lt_i64_e32 vcc, s[22:23], v[18:19]
	v_lshl_add_u64 v[10:11], v[10:11], 0, s[16:17]
	v_lshl_add_u64 v[12:13], v[12:13], 0, s[30:31]
	s_cbranch_vccnz .LBB17_10
.LBB17_5:                               ; =>This Inner Loop Header: Depth=1
	v_cmp_le_i64_e32 vcc, s[6:7], v[14:15]
	s_and_saveexec_b64 s[28:29], vcc
	s_cbranch_execz .LBB17_4
; %bb.6:                                ;   in Loop: Header=BB17_5 Depth=1
	s_and_b32 s18, s6, 1
	s_cmp_eq_u64 s[18:19], 0
	v_mov_b64_e32 v[18:19], s[26:27]
	s_cbranch_scc1 .LBB17_8
; %bb.7:                                ;   in Loop: Header=BB17_5 Depth=1
	s_lshr_b64 s[2:3], s[6:7], 1
	s_lshr_b32 s3, s7, 1
	s_mul_i32 s3, s20, s3
	s_mul_hi_u32 s18, s20, s2
	s_add_i32 s3, s18, s3
	s_mul_i32 s18, s21, s2
	s_add_i32 s3, s3, s18
	s_mul_i32 s2, s20, s2
	v_lshl_add_u64 v[18:19], s[2:3], 2, v[16:17]
	global_load_dword v18, v[18:19], off
	s_waitcnt vmcnt(0)
	v_ashrrev_i32_e32 v19, 31, v18
.LBB17_8:                               ;   in Loop: Header=BB17_5 Depth=1
	v_mul_lo_u32 v25, v19, s8
	v_mul_lo_u32 v27, v18, s9
	v_mad_u64_u32 v[18:19], s[2:3], v18, s8, 0
	v_add3_u32 v19, v19, v27, v25
	v_lshl_add_u64 v[18:19], v[18:19], 2, v[8:9]
	global_load_dword v24, v[10:11], off
	global_load_dword v26, v[12:13], off
	global_load_dword v25, v[18:19], off
	s_waitcnt vmcnt(1)
	v_add_f32_e32 v24, v24, v26
	s_waitcnt vmcnt(0)
	v_cmp_neq_f32_e32 vcc, s5, v25
	s_and_saveexec_b64 s[34:35], vcc
	s_cbranch_execz .LBB17_3
; %bb.9:                                ;   in Loop: Header=BB17_5 Depth=1
	v_cmp_gt_f32_e32 vcc, v25, v24
	s_nop 1
	v_cndmask_b32_e32 v26, v24, v25, vcc
	v_sub_f32_e32 v25, v25, v26
	v_mul_f32_e32 v27, 0x3fb8aa3b, v25
	v_fma_f32 v28, v25, s33, -v27
	v_rndne_f32_e32 v29, v27
	v_fmac_f32_e32 v28, 0x32a5705f, v25
	v_sub_f32_e32 v27, v27, v29
	v_add_f32_e32 v27, v27, v28
	v_exp_f32_e32 v27, v27
	v_cvt_i32_f32_e32 v28, v29
	v_sub_f32_e32 v24, v24, v26
	v_cmp_ngt_f32_e32 vcc, s48, v25
	v_ldexp_f32 v27, v27, v28
	v_mul_f32_e32 v28, 0x3fb8aa3b, v24
	v_fma_f32 v29, v24, s33, -v28
	v_rndne_f32_e32 v30, v28
	v_fmac_f32_e32 v29, 0x32a5705f, v24
	v_sub_f32_e32 v28, v28, v30
	v_add_f32_e32 v28, v28, v29
	v_exp_f32_e32 v28, v28
	v_cvt_i32_f32_e32 v29, v30
	v_cndmask_b32_e32 v27, 0, v27, vcc
	v_cmp_nlt_f32_e32 vcc, s49, v25
	s_nop 1
	v_cndmask_b32_e32 v25, v22, v27, vcc
	v_ldexp_f32 v27, v28, v29
	v_cmp_ngt_f32_e32 vcc, s48, v24
	s_nop 1
	v_cndmask_b32_e32 v27, 0, v27, vcc
	v_cmp_nlt_f32_e32 vcc, s49, v24
	s_nop 1
	v_cndmask_b32_e32 v24, v22, v27, vcc
	v_add_f32_e32 v24, v25, v24
	v_cmp_gt_f32_e32 vcc, s51, v24
	s_nop 1
	v_cndmask_b32_e64 v25, 0, 32, vcc
	v_ldexp_f32 v24, v24, v25
	v_log_f32_e32 v24, v24
	s_nop 0
	v_mul_f32_e32 v25, 0x3f317217, v24
	v_fma_f32 v25, v24, s52, -v25
	v_fmac_f32_e32 v25, 0x3377d1cf, v24
	v_fmac_f32_e32 v25, 0x3f317217, v24
	v_cmp_lt_f32_e64 s[2:3], |v24|, s50
	s_nop 1
	v_cndmask_b32_e64 v24, v24, v25, s[2:3]
	v_cndmask_b32_e32 v25, 0, v23, vcc
	v_sub_f32_e32 v24, v24, v25
	v_add_f32_e32 v24, v26, v24
	s_branch .LBB17_3
.LBB17_10:
	v_cmp_lt_i64_e64 s[2:3], s[24:25], 1
	s_and_b64 vcc, exec, s[2:3]
	s_cbranch_vccnz .LBB17_15
; %bb.11:
	s_load_dwordx2 s[2:3], s[0:1], 0x58
	s_load_dwordx4 s[16:19], s[0:1], 0x8
	s_load_dwordx2 s[6:7], s[0:1], 0x28
	s_load_dword s5, s[0:1], 0xe8
	s_waitcnt vmcnt(0)
	v_cmp_lt_i64_e32 vcc, v[0:1], v[6:7]
	s_waitcnt lgkmcnt(0)
	v_lshl_add_u64 v[8:9], v[2:3], 2, s[2:3]
	v_mad_u64_u32 v[10:11], s[0:1], s18, v2, 0
	v_mov_b32_e32 v12, v11
	global_load_dword v8, v[8:9], off
	v_mad_u64_u32 v[12:13], s[0:1], s19, v2, v[12:13]
	v_mov_b32_e32 v11, v12
	v_lshl_add_u64 v[10:11], v[10:11], 2, s[16:17]
	global_load_dword v9, v[10:11], off
	v_mad_u64_u32 v[10:11], s[0:1], s12, v2, 0
	v_mad_u64_u32 v[12:13], s[0:1], v0, s4, 0
	v_mul_lo_u32 v1, v1, s10
	v_mul_lo_u32 v3, v0, s11
	v_mad_u64_u32 v[6:7], s[0:1], v0, s10, 0
	v_mov_b32_e32 v0, v11
	v_add3_u32 v7, v7, v3, v1
	v_mad_u64_u32 v[2:3], s[0:1], s13, v2, v[0:1]
	s_bitcmp1_b32 s5, 0
	s_mov_b32 s12, 0x7f800000
	v_mov_b32_e32 v11, v2
	s_cselect_b64 s[0:1], -1, 0
	v_lshl_add_u64 v[2:3], v[10:11], 2, s[6:7]
	s_xor_b64 s[6:7], s[0:1], -1
	v_add3_u32 v13, v13, v21, v20
	s_mov_b32 s10, 0x3fb8aa3b
	s_mov_b32 s11, 0xc2ce8ed0
	v_lshl_add_u64 v[0:1], v[12:13], 2, v[4:5]
	v_lshl_add_u64 v[2:3], v[6:7], 2, v[2:3]
	s_lshl_b64 s[2:3], s[14:15], 2
	s_lshl_b64 s[4:5], s[8:9], 2
	s_mov_b32 s8, 0x42b17218
	v_mov_b32_e32 v4, 0x7f800000
	s_waitcnt vmcnt(1)
	v_cmp_neq_f32_e64 s[0:1], s12, v8
	s_or_b64 s[0:1], s[6:7], s[0:1]
	s_and_b64 s[0:1], vcc, s[0:1]
	s_branch .LBB17_13
.LBB17_12:                              ;   in Loop: Header=BB17_13 Depth=1
	s_or_b64 exec, exec, s[6:7]
	s_add_u32 s24, s24, -1
	s_addc_u32 s25, s25, -1
	global_store_dword v[0:1], v5, off
	v_lshl_add_u64 v[2:3], v[2:3], 0, s[2:3]
	s_cmp_lg_u64 s[24:25], 0
	v_lshl_add_u64 v[0:1], v[0:1], 0, s[4:5]
	s_cbranch_scc0 .LBB17_15
.LBB17_13:                              ; =>This Inner Loop Header: Depth=1
	v_mov_b32_e32 v5, 0
	s_and_saveexec_b64 s[6:7], s[0:1]
	s_cbranch_execz .LBB17_12
; %bb.14:                               ;   in Loop: Header=BB17_13 Depth=1
	global_load_dword v5, v[2:3], off
	global_load_dword v6, v[0:1], off
	s_waitcnt vmcnt(1)
	v_mul_f32_e32 v7, 0x3fb8aa3b, v5
	s_waitcnt vmcnt(0)
	v_add_f32_e32 v6, v8, v6
	v_rndne_f32_e32 v10, v7
	v_fma_f32 v11, v5, s10, -v7
	v_sub_f32_e32 v6, v6, v5
	v_sub_f32_e32 v7, v7, v10
	v_fmac_f32_e32 v11, 0x32a5705f, v5
	v_mul_f32_e32 v12, 0x3fb8aa3b, v6
	v_add_f32_e32 v7, v7, v11
	v_fma_f32 v11, v6, s10, -v12
	v_rndne_f32_e32 v13, v12
	v_cvt_i32_f32_e32 v10, v10
	v_exp_f32_e32 v7, v7
	v_fmac_f32_e32 v11, 0x32a5705f, v6
	v_sub_f32_e32 v12, v12, v13
	v_add_f32_e32 v11, v12, v11
	v_cvt_i32_f32_e32 v13, v13
	v_exp_f32_e32 v11, v11
	v_ldexp_f32 v7, v7, v10
	v_cmp_ngt_f32_e32 vcc, s11, v5
	s_nop 1
	v_cndmask_b32_e32 v7, 0, v7, vcc
	v_cmp_nlt_f32_e32 vcc, s8, v5
	s_nop 1
	v_cndmask_b32_e32 v5, v4, v7, vcc
	v_ldexp_f32 v7, v11, v13
	v_cmp_ngt_f32_e32 vcc, s11, v6
	s_nop 1
	v_cndmask_b32_e32 v7, 0, v7, vcc
	v_cmp_nlt_f32_e32 vcc, s8, v6
	s_nop 1
	v_cndmask_b32_e32 v6, v4, v7, vcc
	v_sub_f32_e32 v5, v5, v6
	v_mul_f32_e32 v5, v9, v5
	s_branch .LBB17_12
.LBB17_15:
	s_endpgm
	.section	.rodata,"a",@progbits
	.p2align	6, 0x0
	.amdhsa_kernel _ZN2at6native12_GLOBAL__N_136ctc_loss_backward_collect_gpu_kernelIfiEEvPT_PKS3_lS6_S6_S6_PKllPKT0_S8_lS6_llllllllllllS8_llllb
		.amdhsa_group_segment_fixed_size 0
		.amdhsa_private_segment_fixed_size 0
		.amdhsa_kernarg_size 496
		.amdhsa_user_sgpr_count 2
		.amdhsa_user_sgpr_dispatch_ptr 0
		.amdhsa_user_sgpr_queue_ptr 0
		.amdhsa_user_sgpr_kernarg_segment_ptr 1
		.amdhsa_user_sgpr_dispatch_id 0
		.amdhsa_user_sgpr_kernarg_preload_length 0
		.amdhsa_user_sgpr_kernarg_preload_offset 0
		.amdhsa_user_sgpr_private_segment_size 0
		.amdhsa_uses_dynamic_stack 0
		.amdhsa_enable_private_segment 0
		.amdhsa_system_sgpr_workgroup_id_x 1
		.amdhsa_system_sgpr_workgroup_id_y 1
		.amdhsa_system_sgpr_workgroup_id_z 0
		.amdhsa_system_sgpr_workgroup_info 0
		.amdhsa_system_vgpr_workitem_id 1
		.amdhsa_next_free_vgpr 31
		.amdhsa_next_free_sgpr 53
		.amdhsa_accum_offset 32
		.amdhsa_reserve_vcc 1
		.amdhsa_float_round_mode_32 0
		.amdhsa_float_round_mode_16_64 0
		.amdhsa_float_denorm_mode_32 3
		.amdhsa_float_denorm_mode_16_64 3
		.amdhsa_dx10_clamp 1
		.amdhsa_ieee_mode 1
		.amdhsa_fp16_overflow 0
		.amdhsa_tg_split 0
		.amdhsa_exception_fp_ieee_invalid_op 0
		.amdhsa_exception_fp_denorm_src 0
		.amdhsa_exception_fp_ieee_div_zero 0
		.amdhsa_exception_fp_ieee_overflow 0
		.amdhsa_exception_fp_ieee_underflow 0
		.amdhsa_exception_fp_ieee_inexact 0
		.amdhsa_exception_int_div_zero 0
	.end_amdhsa_kernel
	.section	.text._ZN2at6native12_GLOBAL__N_136ctc_loss_backward_collect_gpu_kernelIfiEEvPT_PKS3_lS6_S6_S6_PKllPKT0_S8_lS6_llllllllllllS8_llllb,"axG",@progbits,_ZN2at6native12_GLOBAL__N_136ctc_loss_backward_collect_gpu_kernelIfiEEvPT_PKS3_lS6_S6_S6_PKllPKT0_S8_lS6_llllllllllllS8_llllb,comdat
.Lfunc_end17:
	.size	_ZN2at6native12_GLOBAL__N_136ctc_loss_backward_collect_gpu_kernelIfiEEvPT_PKS3_lS6_S6_S6_PKllPKT0_S8_lS6_llllllllllllS8_llllb, .Lfunc_end17-_ZN2at6native12_GLOBAL__N_136ctc_loss_backward_collect_gpu_kernelIfiEEvPT_PKS3_lS6_S6_S6_PKllPKT0_S8_lS6_llllllllllllS8_llllb
                                        ; -- End function
	.set _ZN2at6native12_GLOBAL__N_136ctc_loss_backward_collect_gpu_kernelIfiEEvPT_PKS3_lS6_S6_S6_PKllPKT0_S8_lS6_llllllllllllS8_llllb.num_vgpr, 31
	.set _ZN2at6native12_GLOBAL__N_136ctc_loss_backward_collect_gpu_kernelIfiEEvPT_PKS3_lS6_S6_S6_PKllPKT0_S8_lS6_llllllllllllS8_llllb.num_agpr, 0
	.set _ZN2at6native12_GLOBAL__N_136ctc_loss_backward_collect_gpu_kernelIfiEEvPT_PKS3_lS6_S6_S6_PKllPKT0_S8_lS6_llllllllllllS8_llllb.numbered_sgpr, 53
	.set _ZN2at6native12_GLOBAL__N_136ctc_loss_backward_collect_gpu_kernelIfiEEvPT_PKS3_lS6_S6_S6_PKllPKT0_S8_lS6_llllllllllllS8_llllb.num_named_barrier, 0
	.set _ZN2at6native12_GLOBAL__N_136ctc_loss_backward_collect_gpu_kernelIfiEEvPT_PKS3_lS6_S6_S6_PKllPKT0_S8_lS6_llllllllllllS8_llllb.private_seg_size, 0
	.set _ZN2at6native12_GLOBAL__N_136ctc_loss_backward_collect_gpu_kernelIfiEEvPT_PKS3_lS6_S6_S6_PKllPKT0_S8_lS6_llllllllllllS8_llllb.uses_vcc, 1
	.set _ZN2at6native12_GLOBAL__N_136ctc_loss_backward_collect_gpu_kernelIfiEEvPT_PKS3_lS6_S6_S6_PKllPKT0_S8_lS6_llllllllllllS8_llllb.uses_flat_scratch, 0
	.set _ZN2at6native12_GLOBAL__N_136ctc_loss_backward_collect_gpu_kernelIfiEEvPT_PKS3_lS6_S6_S6_PKllPKT0_S8_lS6_llllllllllllS8_llllb.has_dyn_sized_stack, 0
	.set _ZN2at6native12_GLOBAL__N_136ctc_loss_backward_collect_gpu_kernelIfiEEvPT_PKS3_lS6_S6_S6_PKllPKT0_S8_lS6_llllllllllllS8_llllb.has_recursion, 0
	.set _ZN2at6native12_GLOBAL__N_136ctc_loss_backward_collect_gpu_kernelIfiEEvPT_PKS3_lS6_S6_S6_PKllPKT0_S8_lS6_llllllllllllS8_llllb.has_indirect_call, 0
	.section	.AMDGPU.csdata,"",@progbits
; Kernel info:
; codeLenInByte = 1640
; TotalNumSgprs: 59
; NumVgprs: 31
; NumAgprs: 0
; TotalNumVgprs: 31
; ScratchSize: 0
; MemoryBound: 0
; FloatMode: 240
; IeeeMode: 1
; LDSByteSize: 0 bytes/workgroup (compile time only)
; SGPRBlocks: 7
; VGPRBlocks: 3
; NumSGPRsForWavesPerEU: 59
; NumVGPRsForWavesPerEU: 31
; AccumOffset: 32
; Occupancy: 8
; WaveLimiterHint : 1
; COMPUTE_PGM_RSRC2:SCRATCH_EN: 0
; COMPUTE_PGM_RSRC2:USER_SGPR: 2
; COMPUTE_PGM_RSRC2:TRAP_HANDLER: 0
; COMPUTE_PGM_RSRC2:TGID_X_EN: 1
; COMPUTE_PGM_RSRC2:TGID_Y_EN: 1
; COMPUTE_PGM_RSRC2:TGID_Z_EN: 0
; COMPUTE_PGM_RSRC2:TIDIG_COMP_CNT: 1
; COMPUTE_PGM_RSRC3_GFX90A:ACCUM_OFFSET: 7
; COMPUTE_PGM_RSRC3_GFX90A:TG_SPLIT: 0
	.section	.AMDGPU.gpr_maximums,"",@progbits
	.set amdgpu.max_num_vgpr, 0
	.set amdgpu.max_num_agpr, 0
	.set amdgpu.max_num_sgpr, 0
	.section	.AMDGPU.csdata,"",@progbits
	.type	__hip_cuid_f7eaa62ea6bd0212,@object ; @__hip_cuid_f7eaa62ea6bd0212
	.section	.bss,"aw",@nobits
	.globl	__hip_cuid_f7eaa62ea6bd0212
__hip_cuid_f7eaa62ea6bd0212:
	.byte	0                               ; 0x0
	.size	__hip_cuid_f7eaa62ea6bd0212, 1

	.ident	"AMD clang version 22.0.0git (https://github.com/RadeonOpenCompute/llvm-project roc-7.2.4 26084 f58b06dce1f9c15707c5f808fd002e18c2accf7e)"
	.section	".note.GNU-stack","",@progbits
	.addrsig
	.addrsig_sym __hip_cuid_f7eaa62ea6bd0212
	.amdgpu_metadata
---
amdhsa.kernels:
  - .agpr_count:     0
    .args:
      - .address_space:  global
        .offset:         0
        .size:           8
        .value_kind:     global_buffer
      - .address_space:  global
        .offset:         8
        .size:           8
        .value_kind:     global_buffer
      - .actual_access:  read_only
        .address_space:  global
        .offset:         16
        .size:           8
        .value_kind:     global_buffer
      - .offset:         24
        .size:           8
        .value_kind:     by_value
      - .actual_access:  read_only
        .address_space:  global
        .offset:         32
        .size:           8
        .value_kind:     global_buffer
      - .actual_access:  read_only
        .address_space:  global
        .offset:         40
        .size:           8
        .value_kind:     global_buffer
      - .offset:         48
        .size:           8
        .value_kind:     by_value
      - .actual_access:  write_only
        .address_space:  global
        .offset:         56
        .size:           8
        .value_kind:     global_buffer
      - .offset:         64
        .size:           8
        .value_kind:     by_value
      - .offset:         72
        .size:           8
        .value_kind:     by_value
      - .offset:         80
        .size:           8
        .value_kind:     by_value
      - .offset:         88
        .size:           8
        .value_kind:     by_value
      - .offset:         96
        .size:           8
        .value_kind:     by_value
      - .offset:         104
        .size:           8
        .value_kind:     by_value
      - .actual_access:  read_only
        .address_space:  global
        .offset:         112
        .size:           8
        .value_kind:     global_buffer
      - .offset:         120
        .size:           8
        .value_kind:     by_value
      - .offset:         128
        .size:           8
        .value_kind:     by_value
      - .offset:         136
        .size:           8
        .value_kind:     by_value
      - .offset:         144
        .size:           4
        .value_kind:     hidden_block_count_x
      - .offset:         148
        .size:           4
        .value_kind:     hidden_block_count_y
      - .offset:         152
        .size:           4
        .value_kind:     hidden_block_count_z
      - .offset:         156
        .size:           2
        .value_kind:     hidden_group_size_x
      - .offset:         158
        .size:           2
        .value_kind:     hidden_group_size_y
      - .offset:         160
        .size:           2
        .value_kind:     hidden_group_size_z
      - .offset:         162
        .size:           2
        .value_kind:     hidden_remainder_x
      - .offset:         164
        .size:           2
        .value_kind:     hidden_remainder_y
      - .offset:         166
        .size:           2
        .value_kind:     hidden_remainder_z
      - .offset:         184
        .size:           8
        .value_kind:     hidden_global_offset_x
      - .offset:         192
        .size:           8
        .value_kind:     hidden_global_offset_y
      - .offset:         200
        .size:           8
        .value_kind:     hidden_global_offset_z
      - .offset:         208
        .size:           2
        .value_kind:     hidden_grid_dims
    .group_segment_fixed_size: 0
    .kernarg_segment_align: 8
    .kernarg_segment_size: 400
    .language:       OpenCL C
    .language_version:
      - 2
      - 0
    .max_flat_workgroup_size: 896
    .name:           _ZN2at6native12_GLOBAL__N_129ctc_loss_log_alpha_gpu_kernelIdlEEvPT_PKS3_PKllPKT0_S8_lS4_llllllS8_lll
    .private_segment_fixed_size: 0
    .sgpr_count:     99
    .sgpr_spill_count: 0
    .symbol:         _ZN2at6native12_GLOBAL__N_129ctc_loss_log_alpha_gpu_kernelIdlEEvPT_PKS3_PKllPKT0_S8_lS4_llllllS8_lll.kd
    .uniform_work_group_size: 1
    .uses_dynamic_stack: false
    .vgpr_count:     70
    .vgpr_spill_count: 0
    .wavefront_size: 64
  - .agpr_count:     0
    .args:
      - .address_space:  global
        .offset:         0
        .size:           8
        .value_kind:     global_buffer
      - .address_space:  global
        .offset:         8
        .size:           8
        .value_kind:     global_buffer
      - .actual_access:  read_only
        .address_space:  global
        .offset:         16
        .size:           8
        .value_kind:     global_buffer
      - .offset:         24
        .size:           8
        .value_kind:     by_value
      - .actual_access:  read_only
        .address_space:  global
        .offset:         32
        .size:           8
        .value_kind:     global_buffer
      - .actual_access:  read_only
        .address_space:  global
        .offset:         40
        .size:           8
        .value_kind:     global_buffer
      - .offset:         48
        .size:           8
        .value_kind:     by_value
      - .actual_access:  write_only
        .address_space:  global
        .offset:         56
        .size:           8
        .value_kind:     global_buffer
      - .offset:         64
        .size:           8
        .value_kind:     by_value
      - .offset:         72
        .size:           8
        .value_kind:     by_value
      - .offset:         80
        .size:           8
        .value_kind:     by_value
      - .offset:         88
        .size:           8
        .value_kind:     by_value
      - .offset:         96
        .size:           8
        .value_kind:     by_value
      - .offset:         104
        .size:           8
        .value_kind:     by_value
      - .actual_access:  read_only
        .address_space:  global
        .offset:         112
        .size:           8
        .value_kind:     global_buffer
      - .offset:         120
        .size:           8
        .value_kind:     by_value
      - .offset:         128
        .size:           8
        .value_kind:     by_value
      - .offset:         136
        .size:           8
        .value_kind:     by_value
      - .offset:         144
        .size:           4
        .value_kind:     hidden_block_count_x
      - .offset:         148
        .size:           4
        .value_kind:     hidden_block_count_y
      - .offset:         152
        .size:           4
        .value_kind:     hidden_block_count_z
      - .offset:         156
        .size:           2
        .value_kind:     hidden_group_size_x
      - .offset:         158
        .size:           2
        .value_kind:     hidden_group_size_y
      - .offset:         160
        .size:           2
        .value_kind:     hidden_group_size_z
      - .offset:         162
        .size:           2
        .value_kind:     hidden_remainder_x
      - .offset:         164
        .size:           2
        .value_kind:     hidden_remainder_y
      - .offset:         166
        .size:           2
        .value_kind:     hidden_remainder_z
      - .offset:         184
        .size:           8
        .value_kind:     hidden_global_offset_x
      - .offset:         192
        .size:           8
        .value_kind:     hidden_global_offset_y
      - .offset:         200
        .size:           8
        .value_kind:     hidden_global_offset_z
      - .offset:         208
        .size:           2
        .value_kind:     hidden_grid_dims
    .group_segment_fixed_size: 0
    .kernarg_segment_align: 8
    .kernarg_segment_size: 400
    .language:       OpenCL C
    .language_version:
      - 2
      - 0
    .max_flat_workgroup_size: 896
    .name:           _ZN2at6native12_GLOBAL__N_129ctc_loss_log_alpha_gpu_kernelIdiEEvPT_PKS3_PKllPKT0_S8_lS4_llllllS8_lll
    .private_segment_fixed_size: 0
    .sgpr_count:     99
    .sgpr_spill_count: 0
    .symbol:         _ZN2at6native12_GLOBAL__N_129ctc_loss_log_alpha_gpu_kernelIdiEEvPT_PKS3_PKllPKT0_S8_lS4_llllllS8_lll.kd
    .uniform_work_group_size: 1
    .uses_dynamic_stack: false
    .vgpr_count:     70
    .vgpr_spill_count: 0
    .wavefront_size: 64
  - .agpr_count:     0
    .args:
      - .address_space:  global
        .offset:         0
        .size:           8
        .value_kind:     global_buffer
      - .address_space:  global
        .offset:         8
        .size:           8
        .value_kind:     global_buffer
      - .actual_access:  read_only
        .address_space:  global
        .offset:         16
        .size:           8
        .value_kind:     global_buffer
      - .offset:         24
        .size:           8
        .value_kind:     by_value
      - .actual_access:  read_only
        .address_space:  global
        .offset:         32
        .size:           8
        .value_kind:     global_buffer
      - .actual_access:  read_only
        .address_space:  global
        .offset:         40
        .size:           8
        .value_kind:     global_buffer
      - .offset:         48
        .size:           8
        .value_kind:     by_value
      - .actual_access:  write_only
        .address_space:  global
        .offset:         56
        .size:           8
        .value_kind:     global_buffer
      - .offset:         64
        .size:           8
        .value_kind:     by_value
      - .offset:         72
        .size:           8
        .value_kind:     by_value
      - .offset:         80
        .size:           8
        .value_kind:     by_value
      - .offset:         88
        .size:           8
        .value_kind:     by_value
      - .offset:         96
        .size:           8
        .value_kind:     by_value
      - .offset:         104
        .size:           8
        .value_kind:     by_value
      - .actual_access:  read_only
        .address_space:  global
        .offset:         112
        .size:           8
        .value_kind:     global_buffer
      - .offset:         120
        .size:           8
        .value_kind:     by_value
      - .offset:         128
        .size:           8
        .value_kind:     by_value
      - .offset:         136
        .size:           8
        .value_kind:     by_value
      - .offset:         144
        .size:           4
        .value_kind:     hidden_block_count_x
      - .offset:         148
        .size:           4
        .value_kind:     hidden_block_count_y
      - .offset:         152
        .size:           4
        .value_kind:     hidden_block_count_z
      - .offset:         156
        .size:           2
        .value_kind:     hidden_group_size_x
      - .offset:         158
        .size:           2
        .value_kind:     hidden_group_size_y
      - .offset:         160
        .size:           2
        .value_kind:     hidden_group_size_z
      - .offset:         162
        .size:           2
        .value_kind:     hidden_remainder_x
      - .offset:         164
        .size:           2
        .value_kind:     hidden_remainder_y
      - .offset:         166
        .size:           2
        .value_kind:     hidden_remainder_z
      - .offset:         184
        .size:           8
        .value_kind:     hidden_global_offset_x
      - .offset:         192
        .size:           8
        .value_kind:     hidden_global_offset_y
      - .offset:         200
        .size:           8
        .value_kind:     hidden_global_offset_z
      - .offset:         208
        .size:           2
        .value_kind:     hidden_grid_dims
    .group_segment_fixed_size: 0
    .kernarg_segment_align: 8
    .kernarg_segment_size: 400
    .language:       OpenCL C
    .language_version:
      - 2
      - 0
    .max_flat_workgroup_size: 1024
    .name:           _ZN2at6native12_GLOBAL__N_129ctc_loss_log_alpha_gpu_kernelIflEEvPT_PKS3_PKllPKT0_S8_lS4_llllllS8_lll
    .private_segment_fixed_size: 0
    .sgpr_count:     65
    .sgpr_spill_count: 0
    .symbol:         _ZN2at6native12_GLOBAL__N_129ctc_loss_log_alpha_gpu_kernelIflEEvPT_PKS3_PKllPKT0_S8_lS4_llllllS8_lll.kd
    .uniform_work_group_size: 1
    .uses_dynamic_stack: false
    .vgpr_count:     53
    .vgpr_spill_count: 0
    .wavefront_size: 64
  - .agpr_count:     0
    .args:
      - .address_space:  global
        .offset:         0
        .size:           8
        .value_kind:     global_buffer
      - .address_space:  global
        .offset:         8
        .size:           8
        .value_kind:     global_buffer
      - .actual_access:  read_only
        .address_space:  global
        .offset:         16
        .size:           8
        .value_kind:     global_buffer
      - .offset:         24
        .size:           8
        .value_kind:     by_value
      - .actual_access:  read_only
        .address_space:  global
        .offset:         32
        .size:           8
        .value_kind:     global_buffer
      - .actual_access:  read_only
        .address_space:  global
        .offset:         40
        .size:           8
        .value_kind:     global_buffer
      - .offset:         48
        .size:           8
        .value_kind:     by_value
      - .actual_access:  write_only
        .address_space:  global
        .offset:         56
        .size:           8
        .value_kind:     global_buffer
      - .offset:         64
        .size:           8
        .value_kind:     by_value
      - .offset:         72
        .size:           8
        .value_kind:     by_value
      - .offset:         80
        .size:           8
        .value_kind:     by_value
      - .offset:         88
        .size:           8
        .value_kind:     by_value
      - .offset:         96
        .size:           8
        .value_kind:     by_value
      - .offset:         104
        .size:           8
        .value_kind:     by_value
      - .actual_access:  read_only
        .address_space:  global
        .offset:         112
        .size:           8
        .value_kind:     global_buffer
      - .offset:         120
        .size:           8
        .value_kind:     by_value
      - .offset:         128
        .size:           8
        .value_kind:     by_value
      - .offset:         136
        .size:           8
        .value_kind:     by_value
      - .offset:         144
        .size:           4
        .value_kind:     hidden_block_count_x
      - .offset:         148
        .size:           4
        .value_kind:     hidden_block_count_y
      - .offset:         152
        .size:           4
        .value_kind:     hidden_block_count_z
      - .offset:         156
        .size:           2
        .value_kind:     hidden_group_size_x
      - .offset:         158
        .size:           2
        .value_kind:     hidden_group_size_y
      - .offset:         160
        .size:           2
        .value_kind:     hidden_group_size_z
      - .offset:         162
        .size:           2
        .value_kind:     hidden_remainder_x
      - .offset:         164
        .size:           2
        .value_kind:     hidden_remainder_y
      - .offset:         166
        .size:           2
        .value_kind:     hidden_remainder_z
      - .offset:         184
        .size:           8
        .value_kind:     hidden_global_offset_x
      - .offset:         192
        .size:           8
        .value_kind:     hidden_global_offset_y
      - .offset:         200
        .size:           8
        .value_kind:     hidden_global_offset_z
      - .offset:         208
        .size:           2
        .value_kind:     hidden_grid_dims
    .group_segment_fixed_size: 0
    .kernarg_segment_align: 8
    .kernarg_segment_size: 400
    .language:       OpenCL C
    .language_version:
      - 2
      - 0
    .max_flat_workgroup_size: 1024
    .name:           _ZN2at6native12_GLOBAL__N_129ctc_loss_log_alpha_gpu_kernelIfiEEvPT_PKS3_PKllPKT0_S8_lS4_llllllS8_lll
    .private_segment_fixed_size: 0
    .sgpr_count:     65
    .sgpr_spill_count: 0
    .symbol:         _ZN2at6native12_GLOBAL__N_129ctc_loss_log_alpha_gpu_kernelIfiEEvPT_PKS3_PKllPKT0_S8_lS4_llllllS8_lll.kd
    .uniform_work_group_size: 1
    .uses_dynamic_stack: false
    .vgpr_count:     53
    .vgpr_spill_count: 0
    .wavefront_size: 64
  - .agpr_count:     0
    .args:
      - .address_space:  global
        .offset:         0
        .size:           8
        .value_kind:     global_buffer
      - .address_space:  global
        .offset:         8
        .size:           8
        .value_kind:     global_buffer
      - .actual_access:  read_only
        .address_space:  global
        .offset:         16
        .size:           8
        .value_kind:     global_buffer
      - .offset:         24
        .size:           8
        .value_kind:     by_value
      - .actual_access:  read_only
        .address_space:  global
        .offset:         32
        .size:           8
        .value_kind:     global_buffer
      - .actual_access:  read_only
        .address_space:  global
        .offset:         40
        .size:           8
        .value_kind:     global_buffer
      - .offset:         48
        .size:           8
        .value_kind:     by_value
      - .offset:         56
        .size:           8
        .value_kind:     by_value
      - .offset:         64
        .size:           8
        .value_kind:     by_value
      - .offset:         72
        .size:           8
        .value_kind:     by_value
      - .offset:         80
        .size:           8
        .value_kind:     by_value
      - .offset:         88
        .size:           8
        .value_kind:     by_value
      - .offset:         96
        .size:           8
        .value_kind:     by_value
      - .actual_access:  read_only
        .address_space:  global
        .offset:         104
        .size:           8
        .value_kind:     global_buffer
      - .offset:         112
        .size:           8
        .value_kind:     by_value
      - .offset:         120
        .size:           8
        .value_kind:     by_value
      - .offset:         128
        .size:           8
        .value_kind:     by_value
      - .offset:         136
        .size:           4
        .value_kind:     hidden_block_count_x
      - .offset:         140
        .size:           4
        .value_kind:     hidden_block_count_y
      - .offset:         144
        .size:           4
        .value_kind:     hidden_block_count_z
      - .offset:         148
        .size:           2
        .value_kind:     hidden_group_size_x
      - .offset:         150
        .size:           2
        .value_kind:     hidden_group_size_y
      - .offset:         152
        .size:           2
        .value_kind:     hidden_group_size_z
      - .offset:         154
        .size:           2
        .value_kind:     hidden_remainder_x
      - .offset:         156
        .size:           2
        .value_kind:     hidden_remainder_y
      - .offset:         158
        .size:           2
        .value_kind:     hidden_remainder_z
      - .offset:         176
        .size:           8
        .value_kind:     hidden_global_offset_x
      - .offset:         184
        .size:           8
        .value_kind:     hidden_global_offset_y
      - .offset:         192
        .size:           8
        .value_kind:     hidden_global_offset_z
      - .offset:         200
        .size:           2
        .value_kind:     hidden_grid_dims
    .group_segment_fixed_size: 0
    .kernarg_segment_align: 8
    .kernarg_segment_size: 392
    .language:       OpenCL C
    .language_version:
      - 2
      - 0
    .max_flat_workgroup_size: 896
    .name:           _ZN2at6native12_GLOBAL__N_137ctc_loss_backward_log_beta_gpu_kernelIdlEEvPT_PKS3_PKllPKT0_S8_lllllllS8_lll
    .private_segment_fixed_size: 0
    .sgpr_count:     93
    .sgpr_spill_count: 0
    .symbol:         _ZN2at6native12_GLOBAL__N_137ctc_loss_backward_log_beta_gpu_kernelIdlEEvPT_PKS3_PKllPKT0_S8_lllllllS8_lll.kd
    .uniform_work_group_size: 1
    .uses_dynamic_stack: false
    .vgpr_count:     69
    .vgpr_spill_count: 0
    .wavefront_size: 64
  - .agpr_count:     0
    .args:
      - .address_space:  global
        .offset:         0
        .size:           8
        .value_kind:     global_buffer
      - .actual_access:  read_only
        .address_space:  global
        .offset:         8
        .size:           8
        .value_kind:     global_buffer
      - .offset:         16
        .size:           8
        .value_kind:     by_value
      - .actual_access:  read_only
        .address_space:  global
        .offset:         24
        .size:           8
        .value_kind:     global_buffer
      - .actual_access:  read_only
        .address_space:  global
        .offset:         32
        .size:           8
        .value_kind:     global_buffer
      - .address_space:  global
        .offset:         40
        .size:           8
        .value_kind:     global_buffer
      - .actual_access:  read_only
        .address_space:  global
        .offset:         48
        .size:           8
        .value_kind:     global_buffer
      - .actual_access:  read_only
        .address_space:  global
        .offset:         56
        .size:           8
        .value_kind:     global_buffer
      - .actual_access:  read_only
        .address_space:  global
        .offset:         64
        .size:           8
        .value_kind:     global_buffer
      - .actual_access:  read_only
        .address_space:  global
        .offset:         72
        .size:           8
        .value_kind:     global_buffer
      - .offset:         80
        .size:           8
        .value_kind:     by_value
      - .offset:         88
        .size:           8
        .value_kind:     by_value
      - .offset:         96
        .size:           8
        .value_kind:     by_value
      - .offset:         104
        .size:           8
        .value_kind:     by_value
      - .offset:         112
        .size:           8
        .value_kind:     by_value
      - .offset:         120
        .size:           8
        .value_kind:     by_value
      - .offset:         128
        .size:           8
        .value_kind:     by_value
      - .offset:         136
        .size:           8
        .value_kind:     by_value
      - .offset:         144
        .size:           8
        .value_kind:     by_value
      - .offset:         152
        .size:           8
        .value_kind:     by_value
      - .offset:         160
        .size:           8
        .value_kind:     by_value
      - .offset:         168
        .size:           8
        .value_kind:     by_value
      - .actual_access:  read_only
        .address_space:  global
        .offset:         176
        .size:           8
        .value_kind:     global_buffer
      - .offset:         184
        .size:           8
        .value_kind:     by_value
      - .offset:         192
        .size:           8
        .value_kind:     by_value
      - .offset:         200
        .size:           1
        .value_kind:     by_value
      - .offset:         208
        .size:           4
        .value_kind:     hidden_block_count_x
      - .offset:         212
        .size:           4
        .value_kind:     hidden_block_count_y
      - .offset:         216
        .size:           4
        .value_kind:     hidden_block_count_z
      - .offset:         220
        .size:           2
        .value_kind:     hidden_group_size_x
      - .offset:         222
        .size:           2
        .value_kind:     hidden_group_size_y
      - .offset:         224
        .size:           2
        .value_kind:     hidden_group_size_z
      - .offset:         226
        .size:           2
        .value_kind:     hidden_remainder_x
      - .offset:         228
        .size:           2
        .value_kind:     hidden_remainder_y
      - .offset:         230
        .size:           2
        .value_kind:     hidden_remainder_z
      - .offset:         248
        .size:           8
        .value_kind:     hidden_global_offset_x
      - .offset:         256
        .size:           8
        .value_kind:     hidden_global_offset_y
      - .offset:         264
        .size:           8
        .value_kind:     hidden_global_offset_z
      - .offset:         272
        .size:           2
        .value_kind:     hidden_grid_dims
    .group_segment_fixed_size: 0
    .kernarg_segment_align: 8
    .kernarg_segment_size: 464
    .language:       OpenCL C
    .language_version:
      - 2
      - 0
    .max_flat_workgroup_size: 896
    .name:           _ZN2at6native12_GLOBAL__N_145ctc_loss_backward_collect_nonblank_gpu_kernelIdlEEvPT_PKS3_lS6_S6_S6_PKlPKT0_S8_S6_llllllllllllS8_llb
    .private_segment_fixed_size: 0
    .sgpr_count:     56
    .sgpr_spill_count: 0
    .symbol:         _ZN2at6native12_GLOBAL__N_145ctc_loss_backward_collect_nonblank_gpu_kernelIdlEEvPT_PKS3_lS6_S6_S6_PKlPKT0_S8_S6_llllllllllllS8_llb.kd
    .uniform_work_group_size: 1
    .uses_dynamic_stack: false
    .vgpr_count:     50
    .vgpr_spill_count: 0
    .wavefront_size: 64
  - .agpr_count:     0
    .args:
      - .address_space:  global
        .offset:         0
        .size:           8
        .value_kind:     global_buffer
      - .actual_access:  read_only
        .address_space:  global
        .offset:         8
        .size:           8
        .value_kind:     global_buffer
      - .offset:         16
        .size:           8
        .value_kind:     by_value
      - .actual_access:  read_only
        .address_space:  global
        .offset:         24
        .size:           8
        .value_kind:     global_buffer
      - .actual_access:  read_only
        .address_space:  global
        .offset:         32
        .size:           8
        .value_kind:     global_buffer
      - .address_space:  global
        .offset:         40
        .size:           8
        .value_kind:     global_buffer
      - .actual_access:  read_only
        .address_space:  global
        .offset:         48
        .size:           8
        .value_kind:     global_buffer
      - .offset:         56
        .size:           8
        .value_kind:     by_value
      - .actual_access:  read_only
        .address_space:  global
        .offset:         64
        .size:           8
        .value_kind:     global_buffer
      - .actual_access:  read_only
        .address_space:  global
        .offset:         72
        .size:           8
        .value_kind:     global_buffer
      - .offset:         80
        .size:           8
        .value_kind:     by_value
      - .actual_access:  read_only
        .address_space:  global
        .offset:         88
        .size:           8
        .value_kind:     global_buffer
      - .offset:         96
        .size:           8
        .value_kind:     by_value
      - .offset:         104
        .size:           8
        .value_kind:     by_value
      - .offset:         112
        .size:           8
        .value_kind:     by_value
      - .offset:         120
        .size:           8
        .value_kind:     by_value
      - .offset:         128
        .size:           8
        .value_kind:     by_value
      - .offset:         136
        .size:           8
        .value_kind:     by_value
      - .offset:         144
        .size:           8
        .value_kind:     by_value
      - .offset:         152
        .size:           8
        .value_kind:     by_value
      - .offset:         160
        .size:           8
        .value_kind:     by_value
      - .offset:         168
        .size:           8
        .value_kind:     by_value
      - .offset:         176
        .size:           8
        .value_kind:     by_value
      - .offset:         184
        .size:           8
        .value_kind:     by_value
      - .actual_access:  read_only
        .address_space:  global
        .offset:         192
        .size:           8
        .value_kind:     global_buffer
      - .offset:         200
        .size:           8
        .value_kind:     by_value
      - .offset:         208
        .size:           8
        .value_kind:     by_value
      - .offset:         216
        .size:           8
        .value_kind:     by_value
      - .offset:         224
        .size:           8
        .value_kind:     by_value
      - .offset:         232
        .size:           1
        .value_kind:     by_value
      - .offset:         240
        .size:           4
        .value_kind:     hidden_block_count_x
      - .offset:         244
        .size:           4
        .value_kind:     hidden_block_count_y
      - .offset:         248
        .size:           4
        .value_kind:     hidden_block_count_z
      - .offset:         252
        .size:           2
        .value_kind:     hidden_group_size_x
      - .offset:         254
        .size:           2
        .value_kind:     hidden_group_size_y
      - .offset:         256
        .size:           2
        .value_kind:     hidden_group_size_z
      - .offset:         258
        .size:           2
        .value_kind:     hidden_remainder_x
      - .offset:         260
        .size:           2
        .value_kind:     hidden_remainder_y
      - .offset:         262
        .size:           2
        .value_kind:     hidden_remainder_z
      - .offset:         280
        .size:           8
        .value_kind:     hidden_global_offset_x
      - .offset:         288
        .size:           8
        .value_kind:     hidden_global_offset_y
      - .offset:         296
        .size:           8
        .value_kind:     hidden_global_offset_z
      - .offset:         304
        .size:           2
        .value_kind:     hidden_grid_dims
    .group_segment_fixed_size: 0
    .kernarg_segment_align: 8
    .kernarg_segment_size: 496
    .language:       OpenCL C
    .language_version:
      - 2
      - 0
    .max_flat_workgroup_size: 896
    .name:           _ZN2at6native12_GLOBAL__N_136ctc_loss_backward_collect_gpu_kernelIdlEEvPT_PKS3_lS6_S6_S6_PKllPKT0_S8_lS6_llllllllllllS8_llllb
    .private_segment_fixed_size: 0
    .sgpr_count:     86
    .sgpr_spill_count: 0
    .symbol:         _ZN2at6native12_GLOBAL__N_136ctc_loss_backward_collect_gpu_kernelIdlEEvPT_PKS3_lS6_S6_S6_PKllPKT0_S8_lS6_llllllllllllS8_llllb.kd
    .uniform_work_group_size: 1
    .uses_dynamic_stack: false
    .vgpr_count:     56
    .vgpr_spill_count: 0
    .wavefront_size: 64
  - .agpr_count:     0
    .args:
      - .actual_access:  write_only
        .address_space:  global
        .offset:         0
        .size:           8
        .value_kind:     global_buffer
      - .actual_access:  read_only
        .address_space:  global
        .offset:         8
        .size:           8
        .value_kind:     global_buffer
      - .offset:         16
        .size:           8
        .value_kind:     by_value
      - .offset:         24
        .size:           8
        .value_kind:     by_value
      - .offset:         32
        .size:           8
        .value_kind:     by_value
      - .offset:         40
        .size:           8
        .value_kind:     by_value
      - .offset:         48
        .size:           8
        .value_kind:     by_value
      - .offset:         56
        .size:           8
        .value_kind:     by_value
      - .offset:         64
        .size:           4
        .value_kind:     hidden_block_count_x
      - .offset:         68
        .size:           4
        .value_kind:     hidden_block_count_y
      - .offset:         72
        .size:           4
        .value_kind:     hidden_block_count_z
      - .offset:         76
        .size:           2
        .value_kind:     hidden_group_size_x
      - .offset:         78
        .size:           2
        .value_kind:     hidden_group_size_y
      - .offset:         80
        .size:           2
        .value_kind:     hidden_group_size_z
      - .offset:         82
        .size:           2
        .value_kind:     hidden_remainder_x
      - .offset:         84
        .size:           2
        .value_kind:     hidden_remainder_y
      - .offset:         86
        .size:           2
        .value_kind:     hidden_remainder_z
      - .offset:         104
        .size:           8
        .value_kind:     hidden_global_offset_x
      - .offset:         112
        .size:           8
        .value_kind:     hidden_global_offset_y
      - .offset:         120
        .size:           8
        .value_kind:     hidden_global_offset_z
      - .offset:         128
        .size:           2
        .value_kind:     hidden_grid_dims
    .group_segment_fixed_size: 0
    .kernarg_segment_align: 8
    .kernarg_segment_size: 320
    .language:       OpenCL C
    .language_version:
      - 2
      - 0
    .max_flat_workgroup_size: 896
    .name:           _ZN2at6native12_GLOBAL__N_130ctc_loss_zero_padded_gradientsIdEEvPT_PKlllllll
    .private_segment_fixed_size: 0
    .sgpr_count:     24
    .sgpr_spill_count: 0
    .symbol:         _ZN2at6native12_GLOBAL__N_130ctc_loss_zero_padded_gradientsIdEEvPT_PKlllllll.kd
    .uniform_work_group_size: 1
    .uses_dynamic_stack: false
    .vgpr_count:     10
    .vgpr_spill_count: 0
    .wavefront_size: 64
  - .agpr_count:     0
    .args:
      - .address_space:  global
        .offset:         0
        .size:           8
        .value_kind:     global_buffer
      - .address_space:  global
        .offset:         8
        .size:           8
        .value_kind:     global_buffer
      - .actual_access:  read_only
        .address_space:  global
        .offset:         16
        .size:           8
        .value_kind:     global_buffer
      - .offset:         24
        .size:           8
        .value_kind:     by_value
      - .actual_access:  read_only
        .address_space:  global
        .offset:         32
        .size:           8
        .value_kind:     global_buffer
      - .actual_access:  read_only
        .address_space:  global
        .offset:         40
        .size:           8
        .value_kind:     global_buffer
      - .offset:         48
        .size:           8
        .value_kind:     by_value
      - .offset:         56
        .size:           8
        .value_kind:     by_value
      - .offset:         64
        .size:           8
        .value_kind:     by_value
      - .offset:         72
        .size:           8
        .value_kind:     by_value
      - .offset:         80
        .size:           8
        .value_kind:     by_value
      - .offset:         88
        .size:           8
        .value_kind:     by_value
      - .offset:         96
        .size:           8
        .value_kind:     by_value
      - .actual_access:  read_only
        .address_space:  global
        .offset:         104
        .size:           8
        .value_kind:     global_buffer
      - .offset:         112
        .size:           8
        .value_kind:     by_value
      - .offset:         120
        .size:           8
        .value_kind:     by_value
      - .offset:         128
        .size:           8
        .value_kind:     by_value
      - .offset:         136
        .size:           4
        .value_kind:     hidden_block_count_x
      - .offset:         140
        .size:           4
        .value_kind:     hidden_block_count_y
      - .offset:         144
        .size:           4
        .value_kind:     hidden_block_count_z
      - .offset:         148
        .size:           2
        .value_kind:     hidden_group_size_x
      - .offset:         150
        .size:           2
        .value_kind:     hidden_group_size_y
      - .offset:         152
        .size:           2
        .value_kind:     hidden_group_size_z
      - .offset:         154
        .size:           2
        .value_kind:     hidden_remainder_x
      - .offset:         156
        .size:           2
        .value_kind:     hidden_remainder_y
      - .offset:         158
        .size:           2
        .value_kind:     hidden_remainder_z
      - .offset:         176
        .size:           8
        .value_kind:     hidden_global_offset_x
      - .offset:         184
        .size:           8
        .value_kind:     hidden_global_offset_y
      - .offset:         192
        .size:           8
        .value_kind:     hidden_global_offset_z
      - .offset:         200
        .size:           2
        .value_kind:     hidden_grid_dims
    .group_segment_fixed_size: 0
    .kernarg_segment_align: 8
    .kernarg_segment_size: 392
    .language:       OpenCL C
    .language_version:
      - 2
      - 0
    .max_flat_workgroup_size: 896
    .name:           _ZN2at6native12_GLOBAL__N_137ctc_loss_backward_log_beta_gpu_kernelIdiEEvPT_PKS3_PKllPKT0_S8_lllllllS8_lll
    .private_segment_fixed_size: 0
    .sgpr_count:     93
    .sgpr_spill_count: 0
    .symbol:         _ZN2at6native12_GLOBAL__N_137ctc_loss_backward_log_beta_gpu_kernelIdiEEvPT_PKS3_PKllPKT0_S8_lllllllS8_lll.kd
    .uniform_work_group_size: 1
    .uses_dynamic_stack: false
    .vgpr_count:     69
    .vgpr_spill_count: 0
    .wavefront_size: 64
  - .agpr_count:     0
    .args:
      - .address_space:  global
        .offset:         0
        .size:           8
        .value_kind:     global_buffer
      - .actual_access:  read_only
        .address_space:  global
        .offset:         8
        .size:           8
        .value_kind:     global_buffer
      - .offset:         16
        .size:           8
        .value_kind:     by_value
      - .actual_access:  read_only
        .address_space:  global
        .offset:         24
        .size:           8
        .value_kind:     global_buffer
      - .actual_access:  read_only
        .address_space:  global
        .offset:         32
        .size:           8
        .value_kind:     global_buffer
      - .address_space:  global
        .offset:         40
        .size:           8
        .value_kind:     global_buffer
      - .actual_access:  read_only
        .address_space:  global
        .offset:         48
        .size:           8
        .value_kind:     global_buffer
      - .actual_access:  read_only
        .address_space:  global
        .offset:         56
        .size:           8
        .value_kind:     global_buffer
      - .actual_access:  read_only
        .address_space:  global
        .offset:         64
        .size:           8
        .value_kind:     global_buffer
      - .actual_access:  read_only
        .address_space:  global
        .offset:         72
        .size:           8
        .value_kind:     global_buffer
      - .offset:         80
        .size:           8
        .value_kind:     by_value
      - .offset:         88
        .size:           8
        .value_kind:     by_value
      - .offset:         96
        .size:           8
        .value_kind:     by_value
      - .offset:         104
        .size:           8
        .value_kind:     by_value
      - .offset:         112
        .size:           8
        .value_kind:     by_value
      - .offset:         120
        .size:           8
        .value_kind:     by_value
      - .offset:         128
        .size:           8
        .value_kind:     by_value
      - .offset:         136
        .size:           8
        .value_kind:     by_value
      - .offset:         144
        .size:           8
        .value_kind:     by_value
      - .offset:         152
        .size:           8
        .value_kind:     by_value
      - .offset:         160
        .size:           8
        .value_kind:     by_value
      - .offset:         168
        .size:           8
        .value_kind:     by_value
      - .actual_access:  read_only
        .address_space:  global
        .offset:         176
        .size:           8
        .value_kind:     global_buffer
      - .offset:         184
        .size:           8
        .value_kind:     by_value
      - .offset:         192
        .size:           8
        .value_kind:     by_value
      - .offset:         200
        .size:           1
        .value_kind:     by_value
      - .offset:         208
        .size:           4
        .value_kind:     hidden_block_count_x
      - .offset:         212
        .size:           4
        .value_kind:     hidden_block_count_y
      - .offset:         216
        .size:           4
        .value_kind:     hidden_block_count_z
      - .offset:         220
        .size:           2
        .value_kind:     hidden_group_size_x
      - .offset:         222
        .size:           2
        .value_kind:     hidden_group_size_y
      - .offset:         224
        .size:           2
        .value_kind:     hidden_group_size_z
      - .offset:         226
        .size:           2
        .value_kind:     hidden_remainder_x
      - .offset:         228
        .size:           2
        .value_kind:     hidden_remainder_y
      - .offset:         230
        .size:           2
        .value_kind:     hidden_remainder_z
      - .offset:         248
        .size:           8
        .value_kind:     hidden_global_offset_x
      - .offset:         256
        .size:           8
        .value_kind:     hidden_global_offset_y
      - .offset:         264
        .size:           8
        .value_kind:     hidden_global_offset_z
      - .offset:         272
        .size:           2
        .value_kind:     hidden_grid_dims
    .group_segment_fixed_size: 0
    .kernarg_segment_align: 8
    .kernarg_segment_size: 464
    .language:       OpenCL C
    .language_version:
      - 2
      - 0
    .max_flat_workgroup_size: 896
    .name:           _ZN2at6native12_GLOBAL__N_145ctc_loss_backward_collect_nonblank_gpu_kernelIdiEEvPT_PKS3_lS6_S6_S6_PKlPKT0_S8_S6_llllllllllllS8_llb
    .private_segment_fixed_size: 0
    .sgpr_count:     56
    .sgpr_spill_count: 0
    .symbol:         _ZN2at6native12_GLOBAL__N_145ctc_loss_backward_collect_nonblank_gpu_kernelIdiEEvPT_PKS3_lS6_S6_S6_PKlPKT0_S8_S6_llllllllllllS8_llb.kd
    .uniform_work_group_size: 1
    .uses_dynamic_stack: false
    .vgpr_count:     48
    .vgpr_spill_count: 0
    .wavefront_size: 64
  - .agpr_count:     0
    .args:
      - .address_space:  global
        .offset:         0
        .size:           8
        .value_kind:     global_buffer
      - .actual_access:  read_only
        .address_space:  global
        .offset:         8
        .size:           8
        .value_kind:     global_buffer
      - .offset:         16
        .size:           8
        .value_kind:     by_value
      - .actual_access:  read_only
        .address_space:  global
        .offset:         24
        .size:           8
        .value_kind:     global_buffer
      - .actual_access:  read_only
        .address_space:  global
        .offset:         32
        .size:           8
        .value_kind:     global_buffer
      - .address_space:  global
        .offset:         40
        .size:           8
        .value_kind:     global_buffer
      - .actual_access:  read_only
        .address_space:  global
        .offset:         48
        .size:           8
        .value_kind:     global_buffer
      - .offset:         56
        .size:           8
        .value_kind:     by_value
      - .actual_access:  read_only
        .address_space:  global
        .offset:         64
        .size:           8
        .value_kind:     global_buffer
      - .actual_access:  read_only
        .address_space:  global
        .offset:         72
        .size:           8
        .value_kind:     global_buffer
      - .offset:         80
        .size:           8
        .value_kind:     by_value
      - .actual_access:  read_only
        .address_space:  global
        .offset:         88
        .size:           8
        .value_kind:     global_buffer
      - .offset:         96
        .size:           8
        .value_kind:     by_value
      - .offset:         104
        .size:           8
        .value_kind:     by_value
      - .offset:         112
        .size:           8
        .value_kind:     by_value
      - .offset:         120
        .size:           8
        .value_kind:     by_value
      - .offset:         128
        .size:           8
        .value_kind:     by_value
      - .offset:         136
        .size:           8
        .value_kind:     by_value
      - .offset:         144
        .size:           8
        .value_kind:     by_value
      - .offset:         152
        .size:           8
        .value_kind:     by_value
      - .offset:         160
        .size:           8
        .value_kind:     by_value
      - .offset:         168
        .size:           8
        .value_kind:     by_value
      - .offset:         176
        .size:           8
        .value_kind:     by_value
      - .offset:         184
        .size:           8
        .value_kind:     by_value
      - .actual_access:  read_only
        .address_space:  global
        .offset:         192
        .size:           8
        .value_kind:     global_buffer
      - .offset:         200
        .size:           8
        .value_kind:     by_value
      - .offset:         208
        .size:           8
        .value_kind:     by_value
      - .offset:         216
        .size:           8
        .value_kind:     by_value
      - .offset:         224
        .size:           8
        .value_kind:     by_value
      - .offset:         232
        .size:           1
        .value_kind:     by_value
      - .offset:         240
        .size:           4
        .value_kind:     hidden_block_count_x
      - .offset:         244
        .size:           4
        .value_kind:     hidden_block_count_y
      - .offset:         248
        .size:           4
        .value_kind:     hidden_block_count_z
      - .offset:         252
        .size:           2
        .value_kind:     hidden_group_size_x
      - .offset:         254
        .size:           2
        .value_kind:     hidden_group_size_y
      - .offset:         256
        .size:           2
        .value_kind:     hidden_group_size_z
      - .offset:         258
        .size:           2
        .value_kind:     hidden_remainder_x
      - .offset:         260
        .size:           2
        .value_kind:     hidden_remainder_y
      - .offset:         262
        .size:           2
        .value_kind:     hidden_remainder_z
      - .offset:         280
        .size:           8
        .value_kind:     hidden_global_offset_x
      - .offset:         288
        .size:           8
        .value_kind:     hidden_global_offset_y
      - .offset:         296
        .size:           8
        .value_kind:     hidden_global_offset_z
      - .offset:         304
        .size:           2
        .value_kind:     hidden_grid_dims
    .group_segment_fixed_size: 0
    .kernarg_segment_align: 8
    .kernarg_segment_size: 496
    .language:       OpenCL C
    .language_version:
      - 2
      - 0
    .max_flat_workgroup_size: 896
    .name:           _ZN2at6native12_GLOBAL__N_136ctc_loss_backward_collect_gpu_kernelIdiEEvPT_PKS3_lS6_S6_S6_PKllPKT0_S8_lS6_llllllllllllS8_llllb
    .private_segment_fixed_size: 0
    .sgpr_count:     86
    .sgpr_spill_count: 0
    .symbol:         _ZN2at6native12_GLOBAL__N_136ctc_loss_backward_collect_gpu_kernelIdiEEvPT_PKS3_lS6_S6_S6_PKllPKT0_S8_lS6_llllllllllllS8_llllb.kd
    .uniform_work_group_size: 1
    .uses_dynamic_stack: false
    .vgpr_count:     56
    .vgpr_spill_count: 0
    .wavefront_size: 64
  - .agpr_count:     0
    .args:
      - .address_space:  global
        .offset:         0
        .size:           8
        .value_kind:     global_buffer
      - .address_space:  global
        .offset:         8
        .size:           8
        .value_kind:     global_buffer
      - .actual_access:  read_only
        .address_space:  global
        .offset:         16
        .size:           8
        .value_kind:     global_buffer
      - .offset:         24
        .size:           8
        .value_kind:     by_value
      - .actual_access:  read_only
        .address_space:  global
        .offset:         32
        .size:           8
        .value_kind:     global_buffer
      - .actual_access:  read_only
        .address_space:  global
        .offset:         40
        .size:           8
        .value_kind:     global_buffer
      - .offset:         48
        .size:           8
        .value_kind:     by_value
      - .offset:         56
        .size:           8
        .value_kind:     by_value
      - .offset:         64
        .size:           8
        .value_kind:     by_value
      - .offset:         72
        .size:           8
        .value_kind:     by_value
      - .offset:         80
        .size:           8
        .value_kind:     by_value
      - .offset:         88
        .size:           8
        .value_kind:     by_value
      - .offset:         96
        .size:           8
        .value_kind:     by_value
      - .actual_access:  read_only
        .address_space:  global
        .offset:         104
        .size:           8
        .value_kind:     global_buffer
      - .offset:         112
        .size:           8
        .value_kind:     by_value
      - .offset:         120
        .size:           8
        .value_kind:     by_value
      - .offset:         128
        .size:           8
        .value_kind:     by_value
      - .offset:         136
        .size:           4
        .value_kind:     hidden_block_count_x
      - .offset:         140
        .size:           4
        .value_kind:     hidden_block_count_y
      - .offset:         144
        .size:           4
        .value_kind:     hidden_block_count_z
      - .offset:         148
        .size:           2
        .value_kind:     hidden_group_size_x
      - .offset:         150
        .size:           2
        .value_kind:     hidden_group_size_y
      - .offset:         152
        .size:           2
        .value_kind:     hidden_group_size_z
      - .offset:         154
        .size:           2
        .value_kind:     hidden_remainder_x
      - .offset:         156
        .size:           2
        .value_kind:     hidden_remainder_y
      - .offset:         158
        .size:           2
        .value_kind:     hidden_remainder_z
      - .offset:         176
        .size:           8
        .value_kind:     hidden_global_offset_x
      - .offset:         184
        .size:           8
        .value_kind:     hidden_global_offset_y
      - .offset:         192
        .size:           8
        .value_kind:     hidden_global_offset_z
      - .offset:         200
        .size:           2
        .value_kind:     hidden_grid_dims
    .group_segment_fixed_size: 0
    .kernarg_segment_align: 8
    .kernarg_segment_size: 392
    .language:       OpenCL C
    .language_version:
      - 2
      - 0
    .max_flat_workgroup_size: 1024
    .name:           _ZN2at6native12_GLOBAL__N_137ctc_loss_backward_log_beta_gpu_kernelIflEEvPT_PKS3_PKllPKT0_S8_lllllllS8_lll
    .private_segment_fixed_size: 0
    .sgpr_count:     59
    .sgpr_spill_count: 0
    .symbol:         _ZN2at6native12_GLOBAL__N_137ctc_loss_backward_log_beta_gpu_kernelIflEEvPT_PKS3_PKllPKT0_S8_lllllllS8_lll.kd
    .uniform_work_group_size: 1
    .uses_dynamic_stack: false
    .vgpr_count:     50
    .vgpr_spill_count: 0
    .wavefront_size: 64
  - .agpr_count:     0
    .args:
      - .address_space:  global
        .offset:         0
        .size:           8
        .value_kind:     global_buffer
      - .actual_access:  read_only
        .address_space:  global
        .offset:         8
        .size:           8
        .value_kind:     global_buffer
      - .offset:         16
        .size:           8
        .value_kind:     by_value
      - .actual_access:  read_only
        .address_space:  global
        .offset:         24
        .size:           8
        .value_kind:     global_buffer
      - .actual_access:  read_only
        .address_space:  global
        .offset:         32
        .size:           8
        .value_kind:     global_buffer
      - .address_space:  global
        .offset:         40
        .size:           8
        .value_kind:     global_buffer
      - .actual_access:  read_only
        .address_space:  global
        .offset:         48
        .size:           8
        .value_kind:     global_buffer
      - .actual_access:  read_only
        .address_space:  global
        .offset:         56
        .size:           8
        .value_kind:     global_buffer
      - .actual_access:  read_only
        .address_space:  global
        .offset:         64
        .size:           8
        .value_kind:     global_buffer
      - .actual_access:  read_only
        .address_space:  global
        .offset:         72
        .size:           8
        .value_kind:     global_buffer
      - .offset:         80
        .size:           8
        .value_kind:     by_value
      - .offset:         88
        .size:           8
        .value_kind:     by_value
      - .offset:         96
        .size:           8
        .value_kind:     by_value
      - .offset:         104
        .size:           8
        .value_kind:     by_value
      - .offset:         112
        .size:           8
        .value_kind:     by_value
      - .offset:         120
        .size:           8
        .value_kind:     by_value
      - .offset:         128
        .size:           8
        .value_kind:     by_value
      - .offset:         136
        .size:           8
        .value_kind:     by_value
      - .offset:         144
        .size:           8
        .value_kind:     by_value
      - .offset:         152
        .size:           8
        .value_kind:     by_value
      - .offset:         160
        .size:           8
        .value_kind:     by_value
      - .offset:         168
        .size:           8
        .value_kind:     by_value
      - .actual_access:  read_only
        .address_space:  global
        .offset:         176
        .size:           8
        .value_kind:     global_buffer
      - .offset:         184
        .size:           8
        .value_kind:     by_value
      - .offset:         192
        .size:           8
        .value_kind:     by_value
      - .offset:         200
        .size:           1
        .value_kind:     by_value
      - .offset:         208
        .size:           4
        .value_kind:     hidden_block_count_x
      - .offset:         212
        .size:           4
        .value_kind:     hidden_block_count_y
      - .offset:         216
        .size:           4
        .value_kind:     hidden_block_count_z
      - .offset:         220
        .size:           2
        .value_kind:     hidden_group_size_x
      - .offset:         222
        .size:           2
        .value_kind:     hidden_group_size_y
      - .offset:         224
        .size:           2
        .value_kind:     hidden_group_size_z
      - .offset:         226
        .size:           2
        .value_kind:     hidden_remainder_x
      - .offset:         228
        .size:           2
        .value_kind:     hidden_remainder_y
      - .offset:         230
        .size:           2
        .value_kind:     hidden_remainder_z
      - .offset:         248
        .size:           8
        .value_kind:     hidden_global_offset_x
      - .offset:         256
        .size:           8
        .value_kind:     hidden_global_offset_y
      - .offset:         264
        .size:           8
        .value_kind:     hidden_global_offset_z
      - .offset:         272
        .size:           2
        .value_kind:     hidden_grid_dims
    .group_segment_fixed_size: 0
    .kernarg_segment_align: 8
    .kernarg_segment_size: 464
    .language:       OpenCL C
    .language_version:
      - 2
      - 0
    .max_flat_workgroup_size: 1024
    .name:           _ZN2at6native12_GLOBAL__N_145ctc_loss_backward_collect_nonblank_gpu_kernelIflEEvPT_PKS3_lS6_S6_S6_PKlPKT0_S8_S6_llllllllllllS8_llb
    .private_segment_fixed_size: 0
    .sgpr_count:     50
    .sgpr_spill_count: 0
    .symbol:         _ZN2at6native12_GLOBAL__N_145ctc_loss_backward_collect_nonblank_gpu_kernelIflEEvPT_PKS3_lS6_S6_S6_PKlPKT0_S8_S6_llllllllllllS8_llb.kd
    .uniform_work_group_size: 1
    .uses_dynamic_stack: false
    .vgpr_count:     28
    .vgpr_spill_count: 0
    .wavefront_size: 64
  - .agpr_count:     0
    .args:
      - .address_space:  global
        .offset:         0
        .size:           8
        .value_kind:     global_buffer
      - .actual_access:  read_only
        .address_space:  global
        .offset:         8
        .size:           8
        .value_kind:     global_buffer
      - .offset:         16
        .size:           8
        .value_kind:     by_value
      - .actual_access:  read_only
        .address_space:  global
        .offset:         24
        .size:           8
        .value_kind:     global_buffer
      - .actual_access:  read_only
        .address_space:  global
        .offset:         32
        .size:           8
        .value_kind:     global_buffer
      - .address_space:  global
        .offset:         40
        .size:           8
        .value_kind:     global_buffer
      - .actual_access:  read_only
        .address_space:  global
        .offset:         48
        .size:           8
        .value_kind:     global_buffer
      - .offset:         56
        .size:           8
        .value_kind:     by_value
      - .actual_access:  read_only
        .address_space:  global
        .offset:         64
        .size:           8
        .value_kind:     global_buffer
      - .actual_access:  read_only
        .address_space:  global
        .offset:         72
        .size:           8
        .value_kind:     global_buffer
      - .offset:         80
        .size:           8
        .value_kind:     by_value
      - .actual_access:  read_only
        .address_space:  global
        .offset:         88
        .size:           8
        .value_kind:     global_buffer
      - .offset:         96
        .size:           8
        .value_kind:     by_value
      - .offset:         104
        .size:           8
        .value_kind:     by_value
      - .offset:         112
        .size:           8
        .value_kind:     by_value
      - .offset:         120
        .size:           8
        .value_kind:     by_value
      - .offset:         128
        .size:           8
        .value_kind:     by_value
      - .offset:         136
        .size:           8
        .value_kind:     by_value
      - .offset:         144
        .size:           8
        .value_kind:     by_value
      - .offset:         152
        .size:           8
        .value_kind:     by_value
      - .offset:         160
        .size:           8
        .value_kind:     by_value
      - .offset:         168
        .size:           8
        .value_kind:     by_value
      - .offset:         176
        .size:           8
        .value_kind:     by_value
      - .offset:         184
        .size:           8
        .value_kind:     by_value
      - .actual_access:  read_only
        .address_space:  global
        .offset:         192
        .size:           8
        .value_kind:     global_buffer
      - .offset:         200
        .size:           8
        .value_kind:     by_value
      - .offset:         208
        .size:           8
        .value_kind:     by_value
      - .offset:         216
        .size:           8
        .value_kind:     by_value
      - .offset:         224
        .size:           8
        .value_kind:     by_value
      - .offset:         232
        .size:           1
        .value_kind:     by_value
      - .offset:         240
        .size:           4
        .value_kind:     hidden_block_count_x
      - .offset:         244
        .size:           4
        .value_kind:     hidden_block_count_y
      - .offset:         248
        .size:           4
        .value_kind:     hidden_block_count_z
      - .offset:         252
        .size:           2
        .value_kind:     hidden_group_size_x
      - .offset:         254
        .size:           2
        .value_kind:     hidden_group_size_y
      - .offset:         256
        .size:           2
        .value_kind:     hidden_group_size_z
      - .offset:         258
        .size:           2
        .value_kind:     hidden_remainder_x
      - .offset:         260
        .size:           2
        .value_kind:     hidden_remainder_y
      - .offset:         262
        .size:           2
        .value_kind:     hidden_remainder_z
      - .offset:         280
        .size:           8
        .value_kind:     hidden_global_offset_x
      - .offset:         288
        .size:           8
        .value_kind:     hidden_global_offset_y
      - .offset:         296
        .size:           8
        .value_kind:     hidden_global_offset_z
      - .offset:         304
        .size:           2
        .value_kind:     hidden_grid_dims
    .group_segment_fixed_size: 0
    .kernarg_segment_align: 8
    .kernarg_segment_size: 496
    .language:       OpenCL C
    .language_version:
      - 2
      - 0
    .max_flat_workgroup_size: 1024
    .name:           _ZN2at6native12_GLOBAL__N_136ctc_loss_backward_collect_gpu_kernelIflEEvPT_PKS3_lS6_S6_S6_PKllPKT0_S8_lS6_llllllllllllS8_llllb
    .private_segment_fixed_size: 0
    .sgpr_count:     59
    .sgpr_spill_count: 0
    .symbol:         _ZN2at6native12_GLOBAL__N_136ctc_loss_backward_collect_gpu_kernelIflEEvPT_PKS3_lS6_S6_S6_PKllPKT0_S8_lS6_llllllllllllS8_llllb.kd
    .uniform_work_group_size: 1
    .uses_dynamic_stack: false
    .vgpr_count:     31
    .vgpr_spill_count: 0
    .wavefront_size: 64
  - .agpr_count:     0
    .args:
      - .actual_access:  write_only
        .address_space:  global
        .offset:         0
        .size:           8
        .value_kind:     global_buffer
      - .actual_access:  read_only
        .address_space:  global
        .offset:         8
        .size:           8
        .value_kind:     global_buffer
      - .offset:         16
        .size:           8
        .value_kind:     by_value
      - .offset:         24
        .size:           8
        .value_kind:     by_value
      - .offset:         32
        .size:           8
        .value_kind:     by_value
      - .offset:         40
        .size:           8
        .value_kind:     by_value
      - .offset:         48
        .size:           8
        .value_kind:     by_value
      - .offset:         56
        .size:           8
        .value_kind:     by_value
      - .offset:         64
        .size:           4
        .value_kind:     hidden_block_count_x
      - .offset:         68
        .size:           4
        .value_kind:     hidden_block_count_y
      - .offset:         72
        .size:           4
        .value_kind:     hidden_block_count_z
      - .offset:         76
        .size:           2
        .value_kind:     hidden_group_size_x
      - .offset:         78
        .size:           2
        .value_kind:     hidden_group_size_y
      - .offset:         80
        .size:           2
        .value_kind:     hidden_group_size_z
      - .offset:         82
        .size:           2
        .value_kind:     hidden_remainder_x
      - .offset:         84
        .size:           2
        .value_kind:     hidden_remainder_y
      - .offset:         86
        .size:           2
        .value_kind:     hidden_remainder_z
      - .offset:         104
        .size:           8
        .value_kind:     hidden_global_offset_x
      - .offset:         112
        .size:           8
        .value_kind:     hidden_global_offset_y
      - .offset:         120
        .size:           8
        .value_kind:     hidden_global_offset_z
      - .offset:         128
        .size:           2
        .value_kind:     hidden_grid_dims
    .group_segment_fixed_size: 0
    .kernarg_segment_align: 8
    .kernarg_segment_size: 320
    .language:       OpenCL C
    .language_version:
      - 2
      - 0
    .max_flat_workgroup_size: 1024
    .name:           _ZN2at6native12_GLOBAL__N_130ctc_loss_zero_padded_gradientsIfEEvPT_PKlllllll
    .private_segment_fixed_size: 0
    .sgpr_count:     24
    .sgpr_spill_count: 0
    .symbol:         _ZN2at6native12_GLOBAL__N_130ctc_loss_zero_padded_gradientsIfEEvPT_PKlllllll.kd
    .uniform_work_group_size: 1
    .uses_dynamic_stack: false
    .vgpr_count:     9
    .vgpr_spill_count: 0
    .wavefront_size: 64
  - .agpr_count:     0
    .args:
      - .address_space:  global
        .offset:         0
        .size:           8
        .value_kind:     global_buffer
      - .address_space:  global
        .offset:         8
        .size:           8
        .value_kind:     global_buffer
      - .actual_access:  read_only
        .address_space:  global
        .offset:         16
        .size:           8
        .value_kind:     global_buffer
      - .offset:         24
        .size:           8
        .value_kind:     by_value
      - .actual_access:  read_only
        .address_space:  global
        .offset:         32
        .size:           8
        .value_kind:     global_buffer
      - .actual_access:  read_only
        .address_space:  global
        .offset:         40
        .size:           8
        .value_kind:     global_buffer
      - .offset:         48
        .size:           8
        .value_kind:     by_value
      - .offset:         56
        .size:           8
        .value_kind:     by_value
      - .offset:         64
        .size:           8
        .value_kind:     by_value
      - .offset:         72
        .size:           8
        .value_kind:     by_value
      - .offset:         80
        .size:           8
        .value_kind:     by_value
      - .offset:         88
        .size:           8
        .value_kind:     by_value
      - .offset:         96
        .size:           8
        .value_kind:     by_value
      - .actual_access:  read_only
        .address_space:  global
        .offset:         104
        .size:           8
        .value_kind:     global_buffer
      - .offset:         112
        .size:           8
        .value_kind:     by_value
      - .offset:         120
        .size:           8
        .value_kind:     by_value
      - .offset:         128
        .size:           8
        .value_kind:     by_value
      - .offset:         136
        .size:           4
        .value_kind:     hidden_block_count_x
      - .offset:         140
        .size:           4
        .value_kind:     hidden_block_count_y
      - .offset:         144
        .size:           4
        .value_kind:     hidden_block_count_z
      - .offset:         148
        .size:           2
        .value_kind:     hidden_group_size_x
      - .offset:         150
        .size:           2
        .value_kind:     hidden_group_size_y
      - .offset:         152
        .size:           2
        .value_kind:     hidden_group_size_z
      - .offset:         154
        .size:           2
        .value_kind:     hidden_remainder_x
      - .offset:         156
        .size:           2
        .value_kind:     hidden_remainder_y
      - .offset:         158
        .size:           2
        .value_kind:     hidden_remainder_z
      - .offset:         176
        .size:           8
        .value_kind:     hidden_global_offset_x
      - .offset:         184
        .size:           8
        .value_kind:     hidden_global_offset_y
      - .offset:         192
        .size:           8
        .value_kind:     hidden_global_offset_z
      - .offset:         200
        .size:           2
        .value_kind:     hidden_grid_dims
    .group_segment_fixed_size: 0
    .kernarg_segment_align: 8
    .kernarg_segment_size: 392
    .language:       OpenCL C
    .language_version:
      - 2
      - 0
    .max_flat_workgroup_size: 1024
    .name:           _ZN2at6native12_GLOBAL__N_137ctc_loss_backward_log_beta_gpu_kernelIfiEEvPT_PKS3_PKllPKT0_S8_lllllllS8_lll
    .private_segment_fixed_size: 0
    .sgpr_count:     59
    .sgpr_spill_count: 0
    .symbol:         _ZN2at6native12_GLOBAL__N_137ctc_loss_backward_log_beta_gpu_kernelIfiEEvPT_PKS3_PKllPKT0_S8_lllllllS8_lll.kd
    .uniform_work_group_size: 1
    .uses_dynamic_stack: false
    .vgpr_count:     50
    .vgpr_spill_count: 0
    .wavefront_size: 64
  - .agpr_count:     0
    .args:
      - .address_space:  global
        .offset:         0
        .size:           8
        .value_kind:     global_buffer
      - .actual_access:  read_only
        .address_space:  global
        .offset:         8
        .size:           8
        .value_kind:     global_buffer
      - .offset:         16
        .size:           8
        .value_kind:     by_value
      - .actual_access:  read_only
        .address_space:  global
        .offset:         24
        .size:           8
        .value_kind:     global_buffer
      - .actual_access:  read_only
        .address_space:  global
        .offset:         32
        .size:           8
        .value_kind:     global_buffer
      - .address_space:  global
        .offset:         40
        .size:           8
        .value_kind:     global_buffer
      - .actual_access:  read_only
        .address_space:  global
        .offset:         48
        .size:           8
        .value_kind:     global_buffer
      - .actual_access:  read_only
        .address_space:  global
        .offset:         56
        .size:           8
        .value_kind:     global_buffer
      - .actual_access:  read_only
        .address_space:  global
        .offset:         64
        .size:           8
        .value_kind:     global_buffer
      - .actual_access:  read_only
        .address_space:  global
        .offset:         72
        .size:           8
        .value_kind:     global_buffer
      - .offset:         80
        .size:           8
        .value_kind:     by_value
      - .offset:         88
        .size:           8
        .value_kind:     by_value
      - .offset:         96
        .size:           8
        .value_kind:     by_value
      - .offset:         104
        .size:           8
        .value_kind:     by_value
      - .offset:         112
        .size:           8
        .value_kind:     by_value
      - .offset:         120
        .size:           8
        .value_kind:     by_value
      - .offset:         128
        .size:           8
        .value_kind:     by_value
      - .offset:         136
        .size:           8
        .value_kind:     by_value
      - .offset:         144
        .size:           8
        .value_kind:     by_value
      - .offset:         152
        .size:           8
        .value_kind:     by_value
      - .offset:         160
        .size:           8
        .value_kind:     by_value
      - .offset:         168
        .size:           8
        .value_kind:     by_value
      - .actual_access:  read_only
        .address_space:  global
        .offset:         176
        .size:           8
        .value_kind:     global_buffer
      - .offset:         184
        .size:           8
        .value_kind:     by_value
      - .offset:         192
        .size:           8
        .value_kind:     by_value
      - .offset:         200
        .size:           1
        .value_kind:     by_value
      - .offset:         208
        .size:           4
        .value_kind:     hidden_block_count_x
      - .offset:         212
        .size:           4
        .value_kind:     hidden_block_count_y
      - .offset:         216
        .size:           4
        .value_kind:     hidden_block_count_z
      - .offset:         220
        .size:           2
        .value_kind:     hidden_group_size_x
      - .offset:         222
        .size:           2
        .value_kind:     hidden_group_size_y
      - .offset:         224
        .size:           2
        .value_kind:     hidden_group_size_z
      - .offset:         226
        .size:           2
        .value_kind:     hidden_remainder_x
      - .offset:         228
        .size:           2
        .value_kind:     hidden_remainder_y
      - .offset:         230
        .size:           2
        .value_kind:     hidden_remainder_z
      - .offset:         248
        .size:           8
        .value_kind:     hidden_global_offset_x
      - .offset:         256
        .size:           8
        .value_kind:     hidden_global_offset_y
      - .offset:         264
        .size:           8
        .value_kind:     hidden_global_offset_z
      - .offset:         272
        .size:           2
        .value_kind:     hidden_grid_dims
    .group_segment_fixed_size: 0
    .kernarg_segment_align: 8
    .kernarg_segment_size: 464
    .language:       OpenCL C
    .language_version:
      - 2
      - 0
    .max_flat_workgroup_size: 1024
    .name:           _ZN2at6native12_GLOBAL__N_145ctc_loss_backward_collect_nonblank_gpu_kernelIfiEEvPT_PKS3_lS6_S6_S6_PKlPKT0_S8_S6_llllllllllllS8_llb
    .private_segment_fixed_size: 0
    .sgpr_count:     50
    .sgpr_spill_count: 0
    .symbol:         _ZN2at6native12_GLOBAL__N_145ctc_loss_backward_collect_nonblank_gpu_kernelIfiEEvPT_PKS3_lS6_S6_S6_PKlPKT0_S8_S6_llllllllllllS8_llb.kd
    .uniform_work_group_size: 1
    .uses_dynamic_stack: false
    .vgpr_count:     27
    .vgpr_spill_count: 0
    .wavefront_size: 64
  - .agpr_count:     0
    .args:
      - .address_space:  global
        .offset:         0
        .size:           8
        .value_kind:     global_buffer
      - .actual_access:  read_only
        .address_space:  global
        .offset:         8
        .size:           8
        .value_kind:     global_buffer
      - .offset:         16
        .size:           8
        .value_kind:     by_value
      - .actual_access:  read_only
        .address_space:  global
        .offset:         24
        .size:           8
        .value_kind:     global_buffer
      - .actual_access:  read_only
        .address_space:  global
        .offset:         32
        .size:           8
        .value_kind:     global_buffer
      - .address_space:  global
        .offset:         40
        .size:           8
        .value_kind:     global_buffer
      - .actual_access:  read_only
        .address_space:  global
        .offset:         48
        .size:           8
        .value_kind:     global_buffer
      - .offset:         56
        .size:           8
        .value_kind:     by_value
      - .actual_access:  read_only
        .address_space:  global
        .offset:         64
        .size:           8
        .value_kind:     global_buffer
      - .actual_access:  read_only
        .address_space:  global
        .offset:         72
        .size:           8
        .value_kind:     global_buffer
      - .offset:         80
        .size:           8
        .value_kind:     by_value
      - .actual_access:  read_only
        .address_space:  global
        .offset:         88
        .size:           8
        .value_kind:     global_buffer
      - .offset:         96
        .size:           8
        .value_kind:     by_value
      - .offset:         104
        .size:           8
        .value_kind:     by_value
      - .offset:         112
        .size:           8
        .value_kind:     by_value
      - .offset:         120
        .size:           8
        .value_kind:     by_value
      - .offset:         128
        .size:           8
        .value_kind:     by_value
      - .offset:         136
        .size:           8
        .value_kind:     by_value
      - .offset:         144
        .size:           8
        .value_kind:     by_value
      - .offset:         152
        .size:           8
        .value_kind:     by_value
      - .offset:         160
        .size:           8
        .value_kind:     by_value
      - .offset:         168
        .size:           8
        .value_kind:     by_value
      - .offset:         176
        .size:           8
        .value_kind:     by_value
      - .offset:         184
        .size:           8
        .value_kind:     by_value
      - .actual_access:  read_only
        .address_space:  global
        .offset:         192
        .size:           8
        .value_kind:     global_buffer
      - .offset:         200
        .size:           8
        .value_kind:     by_value
      - .offset:         208
        .size:           8
        .value_kind:     by_value
      - .offset:         216
        .size:           8
        .value_kind:     by_value
      - .offset:         224
        .size:           8
        .value_kind:     by_value
      - .offset:         232
        .size:           1
        .value_kind:     by_value
      - .offset:         240
        .size:           4
        .value_kind:     hidden_block_count_x
      - .offset:         244
        .size:           4
        .value_kind:     hidden_block_count_y
      - .offset:         248
        .size:           4
        .value_kind:     hidden_block_count_z
      - .offset:         252
        .size:           2
        .value_kind:     hidden_group_size_x
      - .offset:         254
        .size:           2
        .value_kind:     hidden_group_size_y
      - .offset:         256
        .size:           2
        .value_kind:     hidden_group_size_z
      - .offset:         258
        .size:           2
        .value_kind:     hidden_remainder_x
      - .offset:         260
        .size:           2
        .value_kind:     hidden_remainder_y
      - .offset:         262
        .size:           2
        .value_kind:     hidden_remainder_z
      - .offset:         280
        .size:           8
        .value_kind:     hidden_global_offset_x
      - .offset:         288
        .size:           8
        .value_kind:     hidden_global_offset_y
      - .offset:         296
        .size:           8
        .value_kind:     hidden_global_offset_z
      - .offset:         304
        .size:           2
        .value_kind:     hidden_grid_dims
    .group_segment_fixed_size: 0
    .kernarg_segment_align: 8
    .kernarg_segment_size: 496
    .language:       OpenCL C
    .language_version:
      - 2
      - 0
    .max_flat_workgroup_size: 1024
    .name:           _ZN2at6native12_GLOBAL__N_136ctc_loss_backward_collect_gpu_kernelIfiEEvPT_PKS3_lS6_S6_S6_PKllPKT0_S8_lS6_llllllllllllS8_llllb
    .private_segment_fixed_size: 0
    .sgpr_count:     59
    .sgpr_spill_count: 0
    .symbol:         _ZN2at6native12_GLOBAL__N_136ctc_loss_backward_collect_gpu_kernelIfiEEvPT_PKS3_lS6_S6_S6_PKllPKT0_S8_lS6_llllllllllllS8_llllb.kd
    .uniform_work_group_size: 1
    .uses_dynamic_stack: false
    .vgpr_count:     31
    .vgpr_spill_count: 0
    .wavefront_size: 64
amdhsa.target:   amdgcn-amd-amdhsa--gfx950
amdhsa.version:
  - 1
  - 2
...

	.end_amdgpu_metadata
